;; amdgpu-corpus repo=ROCm/rocFFT kind=compiled arch=gfx906 opt=O3
	.text
	.amdgcn_target "amdgcn-amd-amdhsa--gfx906"
	.amdhsa_code_object_version 6
	.protected	fft_rtc_fwd_len325_factors_13_5_5_wgs_52_tpt_13_dp_ip_CI_unitstride_sbrr_dirReg ; -- Begin function fft_rtc_fwd_len325_factors_13_5_5_wgs_52_tpt_13_dp_ip_CI_unitstride_sbrr_dirReg
	.globl	fft_rtc_fwd_len325_factors_13_5_5_wgs_52_tpt_13_dp_ip_CI_unitstride_sbrr_dirReg
	.p2align	8
	.type	fft_rtc_fwd_len325_factors_13_5_5_wgs_52_tpt_13_dp_ip_CI_unitstride_sbrr_dirReg,@function
fft_rtc_fwd_len325_factors_13_5_5_wgs_52_tpt_13_dp_ip_CI_unitstride_sbrr_dirReg: ; @fft_rtc_fwd_len325_factors_13_5_5_wgs_52_tpt_13_dp_ip_CI_unitstride_sbrr_dirReg
; %bb.0:
	s_load_dwordx2 s[2:3], s[4:5], 0x50
	s_load_dwordx4 s[8:11], s[4:5], 0x0
	s_load_dwordx2 s[12:13], s[4:5], 0x18
	v_mul_u32_u24_e32 v1, 0x13b2, v0
	v_lshrrev_b32_e32 v9, 16, v1
	v_mov_b32_e32 v3, 0
	s_waitcnt lgkmcnt(0)
	v_cmp_lt_u64_e64 s[0:1], s[10:11], 2
	v_mov_b32_e32 v1, 0
	v_lshl_add_u32 v5, s6, 2, v9
	v_mov_b32_e32 v6, v3
	s_and_b64 vcc, exec, s[0:1]
	v_mov_b32_e32 v2, 0
	s_cbranch_vccnz .LBB0_8
; %bb.1:
	s_load_dwordx2 s[0:1], s[4:5], 0x10
	s_add_u32 s6, s12, 8
	s_addc_u32 s7, s13, 0
	v_mov_b32_e32 v1, 0
	v_mov_b32_e32 v2, 0
	s_waitcnt lgkmcnt(0)
	s_add_u32 s14, s0, 8
	s_addc_u32 s15, s1, 0
	s_mov_b64 s[16:17], 1
.LBB0_2:                                ; =>This Inner Loop Header: Depth=1
	s_load_dwordx2 s[18:19], s[14:15], 0x0
                                        ; implicit-def: $vgpr7_vgpr8
	s_waitcnt lgkmcnt(0)
	v_or_b32_e32 v4, s19, v6
	v_cmp_ne_u64_e32 vcc, 0, v[3:4]
	s_and_saveexec_b64 s[0:1], vcc
	s_xor_b64 s[20:21], exec, s[0:1]
	s_cbranch_execz .LBB0_4
; %bb.3:                                ;   in Loop: Header=BB0_2 Depth=1
	v_cvt_f32_u32_e32 v4, s18
	v_cvt_f32_u32_e32 v7, s19
	s_sub_u32 s0, 0, s18
	s_subb_u32 s1, 0, s19
	v_mac_f32_e32 v4, 0x4f800000, v7
	v_rcp_f32_e32 v4, v4
	v_mul_f32_e32 v4, 0x5f7ffffc, v4
	v_mul_f32_e32 v7, 0x2f800000, v4
	v_trunc_f32_e32 v7, v7
	v_mac_f32_e32 v4, 0xcf800000, v7
	v_cvt_u32_f32_e32 v7, v7
	v_cvt_u32_f32_e32 v4, v4
	v_mul_lo_u32 v8, s0, v7
	v_mul_hi_u32 v10, s0, v4
	v_mul_lo_u32 v12, s1, v4
	v_mul_lo_u32 v11, s0, v4
	v_add_u32_e32 v8, v10, v8
	v_add_u32_e32 v8, v8, v12
	v_mul_hi_u32 v10, v4, v11
	v_mul_lo_u32 v12, v4, v8
	v_mul_hi_u32 v14, v4, v8
	v_mul_hi_u32 v13, v7, v11
	v_mul_lo_u32 v11, v7, v11
	v_mul_hi_u32 v15, v7, v8
	v_add_co_u32_e32 v10, vcc, v10, v12
	v_addc_co_u32_e32 v12, vcc, 0, v14, vcc
	v_mul_lo_u32 v8, v7, v8
	v_add_co_u32_e32 v10, vcc, v10, v11
	v_addc_co_u32_e32 v10, vcc, v12, v13, vcc
	v_addc_co_u32_e32 v11, vcc, 0, v15, vcc
	v_add_co_u32_e32 v8, vcc, v10, v8
	v_addc_co_u32_e32 v10, vcc, 0, v11, vcc
	v_add_co_u32_e32 v4, vcc, v4, v8
	v_addc_co_u32_e32 v7, vcc, v7, v10, vcc
	v_mul_lo_u32 v8, s0, v7
	v_mul_hi_u32 v10, s0, v4
	v_mul_lo_u32 v11, s1, v4
	v_mul_lo_u32 v12, s0, v4
	v_add_u32_e32 v8, v10, v8
	v_add_u32_e32 v8, v8, v11
	v_mul_lo_u32 v13, v4, v8
	v_mul_hi_u32 v14, v4, v12
	v_mul_hi_u32 v15, v4, v8
	;; [unrolled: 1-line block ×3, first 2 shown]
	v_mul_lo_u32 v12, v7, v12
	v_mul_hi_u32 v10, v7, v8
	v_add_co_u32_e32 v13, vcc, v14, v13
	v_addc_co_u32_e32 v14, vcc, 0, v15, vcc
	v_mul_lo_u32 v8, v7, v8
	v_add_co_u32_e32 v12, vcc, v13, v12
	v_addc_co_u32_e32 v11, vcc, v14, v11, vcc
	v_addc_co_u32_e32 v10, vcc, 0, v10, vcc
	v_add_co_u32_e32 v8, vcc, v11, v8
	v_addc_co_u32_e32 v10, vcc, 0, v10, vcc
	v_add_co_u32_e32 v4, vcc, v4, v8
	v_addc_co_u32_e32 v10, vcc, v7, v10, vcc
	v_mad_u64_u32 v[7:8], s[0:1], v5, v10, 0
	v_mul_hi_u32 v11, v5, v4
	v_add_co_u32_e32 v12, vcc, v11, v7
	v_addc_co_u32_e32 v13, vcc, 0, v8, vcc
	v_mad_u64_u32 v[7:8], s[0:1], v6, v4, 0
	v_mad_u64_u32 v[10:11], s[0:1], v6, v10, 0
	v_add_co_u32_e32 v4, vcc, v12, v7
	v_addc_co_u32_e32 v4, vcc, v13, v8, vcc
	v_addc_co_u32_e32 v7, vcc, 0, v11, vcc
	v_add_co_u32_e32 v4, vcc, v4, v10
	v_addc_co_u32_e32 v10, vcc, 0, v7, vcc
	v_mul_lo_u32 v11, s19, v4
	v_mul_lo_u32 v12, s18, v10
	v_mad_u64_u32 v[7:8], s[0:1], s18, v4, 0
	v_add3_u32 v8, v8, v12, v11
	v_sub_u32_e32 v11, v6, v8
	v_mov_b32_e32 v12, s19
	v_sub_co_u32_e32 v7, vcc, v5, v7
	v_subb_co_u32_e64 v11, s[0:1], v11, v12, vcc
	v_subrev_co_u32_e64 v12, s[0:1], s18, v7
	v_subbrev_co_u32_e64 v11, s[0:1], 0, v11, s[0:1]
	v_cmp_le_u32_e64 s[0:1], s19, v11
	v_cndmask_b32_e64 v13, 0, -1, s[0:1]
	v_cmp_le_u32_e64 s[0:1], s18, v12
	v_cndmask_b32_e64 v12, 0, -1, s[0:1]
	v_cmp_eq_u32_e64 s[0:1], s19, v11
	v_cndmask_b32_e64 v11, v13, v12, s[0:1]
	v_add_co_u32_e64 v12, s[0:1], 2, v4
	v_addc_co_u32_e64 v13, s[0:1], 0, v10, s[0:1]
	v_add_co_u32_e64 v14, s[0:1], 1, v4
	v_addc_co_u32_e64 v15, s[0:1], 0, v10, s[0:1]
	v_subb_co_u32_e32 v8, vcc, v6, v8, vcc
	v_cmp_ne_u32_e64 s[0:1], 0, v11
	v_cmp_le_u32_e32 vcc, s19, v8
	v_cndmask_b32_e64 v11, v15, v13, s[0:1]
	v_cndmask_b32_e64 v13, 0, -1, vcc
	v_cmp_le_u32_e32 vcc, s18, v7
	v_cndmask_b32_e64 v7, 0, -1, vcc
	v_cmp_eq_u32_e32 vcc, s19, v8
	v_cndmask_b32_e32 v7, v13, v7, vcc
	v_cmp_ne_u32_e32 vcc, 0, v7
	v_cndmask_b32_e64 v7, v14, v12, s[0:1]
	v_cndmask_b32_e32 v8, v10, v11, vcc
	v_cndmask_b32_e32 v7, v4, v7, vcc
.LBB0_4:                                ;   in Loop: Header=BB0_2 Depth=1
	s_andn2_saveexec_b64 s[0:1], s[20:21]
	s_cbranch_execz .LBB0_6
; %bb.5:                                ;   in Loop: Header=BB0_2 Depth=1
	v_cvt_f32_u32_e32 v4, s18
	s_sub_i32 s20, 0, s18
	v_rcp_iflag_f32_e32 v4, v4
	v_mul_f32_e32 v4, 0x4f7ffffe, v4
	v_cvt_u32_f32_e32 v4, v4
	v_mul_lo_u32 v7, s20, v4
	v_mul_hi_u32 v7, v4, v7
	v_add_u32_e32 v4, v4, v7
	v_mul_hi_u32 v4, v5, v4
	v_mul_lo_u32 v7, v4, s18
	v_add_u32_e32 v8, 1, v4
	v_sub_u32_e32 v7, v5, v7
	v_subrev_u32_e32 v10, s18, v7
	v_cmp_le_u32_e32 vcc, s18, v7
	v_cndmask_b32_e32 v7, v7, v10, vcc
	v_cndmask_b32_e32 v4, v4, v8, vcc
	v_add_u32_e32 v8, 1, v4
	v_cmp_le_u32_e32 vcc, s18, v7
	v_cndmask_b32_e32 v7, v4, v8, vcc
	v_mov_b32_e32 v8, v3
.LBB0_6:                                ;   in Loop: Header=BB0_2 Depth=1
	s_or_b64 exec, exec, s[0:1]
	v_mul_lo_u32 v4, v8, s18
	v_mul_lo_u32 v12, v7, s19
	v_mad_u64_u32 v[10:11], s[0:1], v7, s18, 0
	s_load_dwordx2 s[0:1], s[6:7], 0x0
	s_add_u32 s16, s16, 1
	v_add3_u32 v4, v11, v12, v4
	v_sub_co_u32_e32 v5, vcc, v5, v10
	v_subb_co_u32_e32 v4, vcc, v6, v4, vcc
	s_waitcnt lgkmcnt(0)
	v_mul_lo_u32 v4, s0, v4
	v_mul_lo_u32 v6, s1, v5
	v_mad_u64_u32 v[1:2], s[0:1], s0, v5, v[1:2]
	s_addc_u32 s17, s17, 0
	s_add_u32 s6, s6, 8
	v_add3_u32 v2, v6, v2, v4
	v_mov_b32_e32 v4, s10
	v_mov_b32_e32 v5, s11
	s_addc_u32 s7, s7, 0
	v_cmp_ge_u64_e32 vcc, s[16:17], v[4:5]
	s_add_u32 s14, s14, 8
	s_addc_u32 s15, s15, 0
	s_cbranch_vccnz .LBB0_9
; %bb.7:                                ;   in Loop: Header=BB0_2 Depth=1
	v_mov_b32_e32 v5, v7
	v_mov_b32_e32 v6, v8
	s_branch .LBB0_2
.LBB0_8:
	v_mov_b32_e32 v8, v6
	v_mov_b32_e32 v7, v5
.LBB0_9:
	s_lshl_b64 s[0:1], s[10:11], 3
	s_add_u32 s0, s12, s0
	s_addc_u32 s1, s13, s1
	s_load_dwordx2 s[6:7], s[0:1], 0x0
	s_load_dwordx2 s[10:11], s[4:5], 0x20
	v_and_b32_e32 v3, 3, v9
	s_waitcnt lgkmcnt(0)
	v_mad_u64_u32 v[1:2], s[0:1], s6, v7, v[1:2]
	s_mov_b32 s0, 0x13b13b14
	v_mul_lo_u32 v4, s6, v8
	v_mul_lo_u32 v5, s7, v7
	v_mul_hi_u32 v6, v0, s0
	v_cmp_gt_u64_e64 s[0:1], s[10:11], v[7:8]
	v_cmp_le_u64_e32 vcc, s[10:11], v[7:8]
	v_add3_u32 v2, v5, v2, v4
	v_mul_u32_u24_e32 v4, 13, v6
	v_sub_u32_e32 v88, v0, v4
	v_add_u32_e32 v143, 13, v88
	s_and_saveexec_b64 s[4:5], vcc
	s_xor_b64 s[4:5], exec, s[4:5]
; %bb.10:
	v_add_u32_e32 v143, 13, v88
; %bb.11:
	s_or_saveexec_b64 s[4:5], s[4:5]
	v_mul_u32_u24_e32 v0, 0x145, v3
	v_lshlrev_b64 v[90:91], 4, v[1:2]
	v_lshlrev_b32_e32 v144, 4, v0
	v_lshlrev_b32_e32 v0, 4, v88
	s_xor_b64 exec, exec, s[4:5]
	s_cbranch_execz .LBB0_13
; %bb.12:
	v_mov_b32_e32 v89, 0
	v_mov_b32_e32 v1, s3
	v_add_co_u32_e32 v3, vcc, s2, v90
	v_addc_co_u32_e32 v4, vcc, v1, v91, vcc
	v_lshlrev_b64 v[1:2], 4, v[88:89]
	v_add_co_u32_e32 v81, vcc, v3, v1
	v_addc_co_u32_e32 v82, vcc, v4, v2, vcc
	v_add_co_u32_e32 v85, vcc, 0x1000, v81
	v_addc_co_u32_e32 v86, vcc, 0, v82, vcc
	global_load_dwordx4 v[1:4], v[81:82], off
	global_load_dwordx4 v[5:8], v[81:82], off offset:208
	global_load_dwordx4 v[9:12], v[81:82], off offset:416
	;; [unrolled: 1-line block ×19, first 2 shown]
	s_nop 0
	global_load_dwordx4 v[81:84], v[85:86], off offset:64
	global_load_dwordx4 v[92:95], v[85:86], off offset:272
	;; [unrolled: 1-line block ×5, first 2 shown]
	v_add3_u32 v85, 0, v144, v0
	s_waitcnt vmcnt(24)
	ds_write_b128 v85, v[1:4]
	s_waitcnt vmcnt(23)
	ds_write_b128 v85, v[5:8] offset:208
	s_waitcnt vmcnt(22)
	ds_write_b128 v85, v[9:12] offset:416
	;; [unrolled: 2-line block ×24, first 2 shown]
.LBB0_13:
	s_or_b64 exec, exec, s[4:5]
	v_add_u32_e32 v60, 0, v144
	v_add_u32_e32 v142, v60, v0
	;; [unrolled: 1-line block ×4, first 2 shown]
	s_waitcnt lgkmcnt(0)
	; wave barrier
	s_waitcnt lgkmcnt(0)
	ds_read_b128 v[56:59], v89 offset:400
	ds_read_b128 v[52:55], v142
	ds_read_b128 v[0:3], v89 offset:208
	ds_read_b128 v[44:47], v89 offset:608
	;; [unrolled: 1-line block ×6, first 2 shown]
	s_waitcnt lgkmcnt(6)
	v_add_f64 v[4:5], v[52:53], v[56:57]
	v_add_f64 v[6:7], v[54:55], v[58:59]
	ds_read_b128 v[8:11], v89 offset:1600
	ds_read_b128 v[36:39], v89 offset:1808
	s_mov_b32 s22, 0x42a4c3d2
	s_mov_b32 s23, 0xbfea55e2
	;; [unrolled: 1-line block ×4, first 2 shown]
	s_waitcnt lgkmcnt(5)
	v_add_f64 v[4:5], v[4:5], v[61:62]
	v_add_f64 v[6:7], v[6:7], v[63:64]
	s_mov_b32 s29, 0xbfddbe06
	s_mov_b32 s17, 0x3fe22d96
	;; [unrolled: 1-line block ×6, first 2 shown]
	s_waitcnt lgkmcnt(3)
	v_add_f64 v[4:5], v[4:5], v[12:13]
	v_add_f64 v[6:7], v[6:7], v[14:15]
	s_mov_b32 s12, 0xebaa3ed8
	s_mov_b32 s4, 0x2ef20147
	ds_read_b128 v[32:35], v89 offset:2208
	s_mov_b32 s13, 0x3fbedb7d
	s_mov_b32 s5, 0xbfedeba7
	;; [unrolled: 1-line block ×3, first 2 shown]
	s_waitcnt lgkmcnt(2)
	v_add_f64 v[16:17], v[4:5], v[8:9]
	v_add_f64 v[18:19], v[6:7], v[10:11]
	ds_read_b128 v[4:7], v89 offset:2000
	s_mov_b32 s10, 0x24c2f84
	s_mov_b32 s18, 0x4bc48dbf
	;; [unrolled: 1-line block ×5, first 2 shown]
	s_waitcnt lgkmcnt(0)
	v_add_f64 v[20:21], v[16:17], v[4:5]
	v_add_f64 v[22:23], v[18:19], v[6:7]
	ds_read_b128 v[16:19], v89 offset:2400
	ds_read_b128 v[65:68], v89 offset:2800
	;; [unrolled: 1-line block ×5, first 2 shown]
	s_mov_b32 s26, 0xd0032e0c
	s_waitcnt lgkmcnt(3)
	v_add_f64 v[85:86], v[16:17], v[65:66]
	v_add_f64 v[73:74], v[20:21], v[16:17]
	;; [unrolled: 1-line block ×4, first 2 shown]
	v_add_f64 v[98:99], v[16:17], -v[65:66]
	v_add_f64 v[100:101], v[18:19], -v[67:68]
	ds_read_b128 v[20:23], v89 offset:3408
	s_waitcnt lgkmcnt(1)
	v_add_f64 v[102:103], v[4:5], v[69:70]
	v_add_f64 v[104:105], v[6:7], v[71:72]
	;; [unrolled: 1-line block ×4, first 2 shown]
	ds_read_b128 v[65:68], v89 offset:3600
	v_add_f64 v[106:107], v[4:5], -v[69:70]
	v_add_f64 v[108:109], v[6:7], -v[71:72]
	ds_read_b128 v[4:7], v89 offset:3808
	ds_read_b128 v[73:76], v89 offset:4000
	s_waitcnt lgkmcnt(2)
	v_add_f64 v[110:111], v[8:9], v[65:66]
	v_add_f64 v[81:82], v[16:17], v[69:70]
	;; [unrolled: 1-line block ×4, first 2 shown]
	v_add_f64 v[114:115], v[8:9], -v[65:66]
	v_add_f64 v[116:117], v[10:11], -v[67:68]
	ds_read_b128 v[8:11], v89 offset:4208
	ds_read_b128 v[69:72], v89 offset:4400
	;; [unrolled: 1-line block ×4, first 2 shown]
	v_add_f64 v[65:66], v[81:82], v[65:66]
	v_add_f64 v[67:68], v[83:84], v[67:68]
	s_waitcnt lgkmcnt(4)
	v_add_f64 v[118:119], v[12:13], v[73:74]
	s_waitcnt lgkmcnt(2)
	v_add_f64 v[128:129], v[63:64], v[71:72]
	s_waitcnt lgkmcnt(0)
	v_add_f64 v[81:82], v[58:59], -v[79:80]
	v_add_f64 v[132:133], v[63:64], -v[71:72]
	v_add_f64 v[63:64], v[58:59], v[79:80]
	v_add_f64 v[122:123], v[12:13], -v[73:74]
	v_add_f64 v[58:59], v[65:66], v[73:74]
	v_add_f64 v[65:66], v[67:68], v[75:76]
	;; [unrolled: 1-line block ×3, first 2 shown]
	v_add_f64 v[130:131], v[61:62], -v[69:70]
	v_add_f64 v[61:62], v[56:57], v[77:78]
	v_add_f64 v[73:74], v[56:57], -v[77:78]
	v_mul_f64 v[56:57], v[81:82], s[22:23]
	v_add_f64 v[120:121], v[14:15], v[75:76]
	v_add_f64 v[58:59], v[58:59], v[69:70]
	;; [unrolled: 1-line block ×3, first 2 shown]
	v_mul_f64 v[153:154], v[122:123], s[14:15]
	v_mul_f64 v[140:141], v[130:131], s[22:23]
	;; [unrolled: 1-line block ×4, first 2 shown]
	v_fma_f64 v[71:72], v[61:62], s[16:17], -v[56:57]
	v_fma_f64 v[94:95], v[61:62], s[16:17], v[56:57]
	v_add_f64 v[56:57], v[58:59], v[77:78]
	v_add_f64 v[58:59], v[65:66], v[79:80]
	v_mul_f64 v[65:66], v[73:74], s[28:29]
	v_fma_f64 v[149:150], v[128:129], s[16:17], v[140:141]
	v_add_f64 v[124:125], v[14:15], -v[75:76]
	v_mul_f64 v[75:76], v[81:82], s[14:15]
	v_mul_f64 v[83:84], v[81:82], s[4:5]
	;; [unrolled: 1-line block ×3, first 2 shown]
	v_fma_f64 v[69:70], v[61:62], s[20:21], -v[67:68]
	v_mul_f64 v[77:78], v[81:82], s[18:19]
	v_fma_f64 v[136:137], v[63:64], s[20:21], v[65:66]
	v_mul_f64 v[138:139], v[132:133], s[22:23]
	v_mul_f64 v[155:156], v[73:74], s[22:23]
	v_fma_f64 v[65:66], v[63:64], s[20:21], -v[65:66]
	v_mul_f64 v[169:170], v[106:107], s[10:11]
	s_mov_b32 s24, 0x93053d00
	s_mov_b32 s27, 0xbfe7f3cc
	s_mov_b32 s25, 0xbfef11f4
	v_add_f64 v[136:137], v[54:55], v[136:137]
	v_fma_f64 v[67:68], v[61:62], s[20:21], v[67:68]
	v_fma_f64 v[134:135], v[61:62], s[12:13], -v[75:76]
	v_fma_f64 v[75:76], v[61:62], s[12:13], v[75:76]
	v_fma_f64 v[79:80], v[61:62], s[6:7], -v[83:84]
	;; [unrolled: 2-line block ×3, first 2 shown]
	v_fma_f64 v[92:93], v[61:62], s[26:27], v[92:93]
	v_add_f64 v[136:137], v[149:150], v[136:137]
	v_fma_f64 v[149:150], v[120:121], s[12:13], v[153:154]
	v_fma_f64 v[145:146], v[61:62], s[24:25], -v[77:78]
	v_add_f64 v[69:70], v[52:53], v[69:70]
	v_fma_f64 v[147:148], v[126:127], s[16:17], -v[138:139]
	v_mul_f64 v[151:152], v[124:125], s[14:15]
	v_fma_f64 v[61:62], v[61:62], s[24:25], v[77:78]
	v_mul_f64 v[77:78], v[73:74], s[14:15]
	v_mul_f64 v[161:162], v[73:74], s[4:5]
	v_add_f64 v[136:137], v[149:150], v[136:137]
	v_fma_f64 v[149:150], v[112:113], s[6:7], v[159:160]
	v_mul_f64 v[163:164], v[73:74], s[10:11]
	v_mul_f64 v[73:74], v[73:74], s[18:19]
	v_fma_f64 v[165:166], v[63:64], s[16:17], v[155:156]
	v_add_f64 v[65:66], v[54:55], v[65:66]
	v_fma_f64 v[140:141], v[128:129], s[16:17], -v[140:141]
	v_add_f64 v[69:70], v[147:148], v[69:70]
	v_fma_f64 v[147:148], v[118:119], s[12:13], -v[151:152]
	v_add_f64 v[136:137], v[149:150], v[136:137]
	v_fma_f64 v[149:150], v[104:105], s[26:27], v[169:170]
	v_mul_f64 v[157:158], v[116:117], s[4:5]
	v_fma_f64 v[155:156], v[63:64], s[16:17], -v[155:156]
	v_fma_f64 v[171:172], v[63:64], s[12:13], v[77:78]
	v_fma_f64 v[77:78], v[63:64], s[12:13], -v[77:78]
	v_fma_f64 v[173:174], v[63:64], s[6:7], v[161:162]
	v_add_f64 v[67:68], v[52:53], v[67:68]
	v_fma_f64 v[138:139], v[126:127], s[16:17], v[138:139]
	v_fma_f64 v[161:162], v[63:64], s[6:7], -v[161:162]
	v_fma_f64 v[175:176], v[63:64], s[26:27], v[163:164]
	v_fma_f64 v[163:164], v[63:64], s[26:27], -v[163:164]
	;; [unrolled: 2-line block ×3, first 2 shown]
	v_add_f64 v[73:74], v[149:150], v[136:137]
	v_add_f64 v[136:137], v[54:55], v[165:166]
	;; [unrolled: 1-line block ×4, first 2 shown]
	v_mul_f64 v[92:93], v[132:133], s[4:5]
	v_mul_f64 v[140:141], v[130:131], s[4:5]
	v_add_f64 v[69:70], v[147:148], v[69:70]
	v_fma_f64 v[147:148], v[110:111], s[6:7], -v[157:158]
	v_mul_f64 v[167:168], v[108:109], s[10:11]
	v_add_f64 v[67:68], v[138:139], v[67:68]
	v_add_f64 v[71:72], v[52:53], v[71:72]
	;; [unrolled: 1-line block ×6, first 2 shown]
	v_fma_f64 v[153:154], v[120:121], s[12:13], -v[153:154]
	v_fma_f64 v[173:174], v[126:127], s[6:7], -v[92:93]
	v_fma_f64 v[175:176], v[128:129], s[6:7], v[140:141]
	v_mul_f64 v[179:180], v[124:125], s[18:19]
	v_mul_f64 v[181:182], v[122:123], s[18:19]
	s_mov_b32 s35, 0x3fe5384d
	s_mov_b32 s34, s10
	v_add_f64 v[69:70], v[147:148], v[69:70]
	v_fma_f64 v[147:148], v[102:103], s[26:27], -v[167:168]
	v_add_f64 v[94:95], v[52:53], v[94:95]
	v_add_f64 v[134:135], v[52:53], v[134:135]
	;; [unrolled: 1-line block ×5, first 2 shown]
	v_fma_f64 v[151:152], v[118:119], s[12:13], v[151:152]
	v_add_f64 v[83:84], v[52:53], v[83:84]
	v_add_f64 v[145:146], v[52:53], v[145:146]
	;; [unrolled: 1-line block ×6, first 2 shown]
	v_fma_f64 v[71:72], v[118:119], s[24:25], -v[179:180]
	v_fma_f64 v[136:137], v[120:121], s[24:25], v[181:182]
	v_mul_f64 v[153:154], v[116:117], s[34:35]
	v_mul_f64 v[173:174], v[114:115], s[34:35]
	s_mov_b32 s41, 0x3fefc445
	s_mov_b32 s40, s14
	v_add_f64 v[69:70], v[147:148], v[69:70]
	v_add_f64 v[147:148], v[54:55], v[171:172]
	v_mul_f64 v[171:172], v[100:101], s[18:19]
	v_add_f64 v[67:68], v[151:152], v[67:68]
	v_fma_f64 v[151:152], v[110:111], s[6:7], v[157:158]
	v_mul_f64 v[157:158], v[98:99], s[18:19]
	v_add_f64 v[61:62], v[71:72], v[61:62]
	v_add_f64 v[65:66], v[136:137], v[65:66]
	v_fma_f64 v[71:72], v[110:111], s[26:27], -v[153:154]
	v_fma_f64 v[136:137], v[112:113], s[26:27], v[173:174]
	v_mul_f64 v[185:186], v[108:109], s[40:41]
	v_mul_f64 v[187:188], v[106:107], s[40:41]
	v_fma_f64 v[175:176], v[85:86], s[24:25], -v[171:172]
	v_add_f64 v[67:68], v[151:152], v[67:68]
	v_fma_f64 v[151:152], v[96:97], s[24:25], v[157:158]
	v_fma_f64 v[159:160], v[112:113], s[6:7], -v[159:160]
	v_add_f64 v[61:62], v[71:72], v[61:62]
	v_add_f64 v[65:66], v[136:137], v[65:66]
	v_fma_f64 v[71:72], v[102:103], s[12:13], -v[185:186]
	v_fma_f64 v[136:137], v[104:105], s[12:13], v[187:188]
	v_fma_f64 v[92:93], v[126:127], s[6:7], v[92:93]
	v_add_f64 v[77:78], v[54:55], v[77:78]
	v_add_f64 v[163:164], v[54:55], v[163:164]
	v_add_f64 v[177:178], v[54:55], v[177:178]
	v_fma_f64 v[167:168], v[102:103], s[26:27], v[167:168]
	v_add_f64 v[189:190], v[54:55], v[63:64]
	v_add_f64 v[63:64], v[159:160], v[52:53]
	v_fma_f64 v[159:160], v[104:105], s[26:27], -v[169:170]
	v_add_f64 v[52:53], v[175:176], v[69:70]
	v_add_f64 v[54:55], v[151:152], v[73:74]
	v_fma_f64 v[69:70], v[128:129], s[6:7], -v[140:141]
	v_add_f64 v[71:72], v[71:72], v[61:62]
	v_add_f64 v[73:74], v[136:137], v[65:66]
	;; [unrolled: 1-line block ×3, first 2 shown]
	v_fma_f64 v[65:66], v[118:119], s[24:25], v[179:180]
	v_mul_f64 v[94:95], v[132:133], s[18:19]
	v_mul_f64 v[136:137], v[130:131], s[18:19]
	s_mov_b32 s45, 0x3fddbe06
	s_mov_b32 s44, s28
	;; [unrolled: 1-line block ×4, first 2 shown]
	v_add_f64 v[67:68], v[167:168], v[67:68]
	v_add_f64 v[63:64], v[159:160], v[63:64]
	v_fma_f64 v[92:93], v[85:86], s[24:25], v[171:172]
	v_add_f64 v[69:70], v[69:70], v[138:139]
	v_mul_f64 v[138:139], v[100:101], s[44:45]
	v_fma_f64 v[140:141], v[120:121], s[24:25], -v[181:182]
	v_add_f64 v[65:66], v[65:66], v[61:62]
	v_fma_f64 v[151:152], v[110:111], s[26:27], v[153:154]
	v_fma_f64 v[159:160], v[126:127], s[24:25], -v[94:95]
	v_fma_f64 v[167:168], v[128:129], s[24:25], v[136:137]
	v_mul_f64 v[169:170], v[124:125], s[38:39]
	v_mul_f64 v[171:172], v[122:123], s[38:39]
	;; [unrolled: 1-line block ×3, first 2 shown]
	v_fma_f64 v[157:158], v[96:97], s[24:25], -v[157:158]
	v_add_f64 v[61:62], v[92:93], v[67:68]
	v_add_f64 v[67:68], v[140:141], v[69:70]
	v_fma_f64 v[69:70], v[85:86], s[20:21], -v[138:139]
	v_add_f64 v[92:93], v[151:152], v[65:66]
	v_add_f64 v[65:66], v[159:160], v[134:135]
	;; [unrolled: 1-line block ×3, first 2 shown]
	v_fma_f64 v[140:141], v[118:119], s[6:7], -v[169:170]
	v_fma_f64 v[147:148], v[120:121], s[6:7], v[171:172]
	v_mul_f64 v[151:152], v[116:117], s[44:45]
	v_mul_f64 v[159:160], v[114:115], s[44:45]
	v_fma_f64 v[173:174], v[112:113], s[26:27], -v[173:174]
	v_fma_f64 v[94:95], v[126:127], s[24:25], v[94:95]
	v_fma_f64 v[167:168], v[96:97], s[20:21], v[153:154]
	;; [unrolled: 1-line block ×3, first 2 shown]
	v_add_f64 v[63:64], v[157:158], v[63:64]
	v_add_f64 v[140:141], v[140:141], v[65:66]
	;; [unrolled: 1-line block ×3, first 2 shown]
	v_fma_f64 v[147:148], v[110:111], s[20:21], -v[151:152]
	v_fma_f64 v[157:158], v[112:113], s[20:21], v[159:160]
	v_mul_f64 v[179:180], v[108:109], s[22:23]
	v_mul_f64 v[181:182], v[106:107], s[22:23]
	v_add_f64 v[65:66], v[69:70], v[71:72]
	v_add_f64 v[69:70], v[173:174], v[67:68]
	v_fma_f64 v[71:72], v[104:105], s[12:13], -v[187:188]
	v_add_f64 v[75:76], v[94:95], v[75:76]
	v_fma_f64 v[94:95], v[118:119], s[6:7], v[169:170]
	v_add_f64 v[140:141], v[147:148], v[140:141]
	v_add_f64 v[134:135], v[157:158], v[134:135]
	v_fma_f64 v[147:148], v[102:103], s[16:17], -v[179:180]
	v_fma_f64 v[157:158], v[104:105], s[16:17], v[181:182]
	v_add_f64 v[67:68], v[167:168], v[73:74]
	v_fma_f64 v[73:74], v[128:129], s[24:25], -v[136:137]
	v_add_f64 v[92:93], v[175:176], v[92:93]
	v_add_f64 v[71:72], v[71:72], v[69:70]
	v_fma_f64 v[69:70], v[85:86], s[20:21], v[138:139]
	v_add_f64 v[75:76], v[94:95], v[75:76]
	v_mul_f64 v[94:95], v[132:133], s[34:35]
	v_add_f64 v[136:137], v[147:148], v[140:141]
	v_add_f64 v[134:135], v[157:158], v[134:135]
	;; [unrolled: 1-line block ×3, first 2 shown]
	v_fma_f64 v[77:78], v[120:121], s[6:7], -v[171:172]
	v_mul_f64 v[138:139], v[100:101], s[10:11]
	v_fma_f64 v[140:141], v[110:111], s[20:21], v[151:152]
	v_mul_f64 v[147:148], v[98:99], s[10:11]
	v_fma_f64 v[151:152], v[96:97], s[20:21], -v[153:154]
	v_add_f64 v[69:70], v[69:70], v[92:93]
	v_mul_f64 v[92:93], v[130:131], s[34:35]
	v_fma_f64 v[153:154], v[126:127], s[26:27], -v[94:95]
	v_mul_f64 v[157:158], v[124:125], s[44:45]
	v_add_f64 v[77:78], v[77:78], v[73:74]
	v_fma_f64 v[73:74], v[85:86], s[26:27], -v[138:139]
	v_add_f64 v[140:141], v[140:141], v[75:76]
	v_fma_f64 v[75:76], v[96:97], s[26:27], v[147:148]
	v_fma_f64 v[159:160], v[112:113], s[20:21], -v[159:160]
	v_fma_f64 v[169:170], v[128:129], s[26:27], v[92:93]
	v_mul_f64 v[171:172], v[122:123], s[44:45]
	v_add_f64 v[79:80], v[153:154], v[79:80]
	v_fma_f64 v[153:154], v[118:119], s[20:21], -v[157:158]
	v_mul_f64 v[173:174], v[116:117], s[14:15]
	s_mov_b32 s31, 0x3fcea1e5
	s_mov_b32 s30, s18
	v_fma_f64 v[167:168], v[102:103], s[16:17], v[179:180]
	v_add_f64 v[71:72], v[151:152], v[71:72]
	v_add_f64 v[73:74], v[73:74], v[136:137]
	;; [unrolled: 1-line block ×5, first 2 shown]
	v_fma_f64 v[136:137], v[120:121], s[20:21], v[171:172]
	v_add_f64 v[79:80], v[153:154], v[79:80]
	v_fma_f64 v[149:150], v[110:111], s[12:13], -v[173:174]
	v_mul_f64 v[151:152], v[114:115], s[14:15]
	v_mul_f64 v[153:154], v[108:109], s[30:31]
	v_fma_f64 v[159:160], v[104:105], s[16:17], -v[181:182]
	v_fma_f64 v[94:95], v[126:127], s[26:27], v[94:95]
	v_fma_f64 v[92:93], v[128:129], s[26:27], -v[92:93]
	v_add_f64 v[140:141], v[167:168], v[140:141]
	v_add_f64 v[134:135], v[136:137], v[134:135]
	v_add_f64 v[79:80], v[149:150], v[79:80]
	v_fma_f64 v[136:137], v[112:113], s[12:13], v[151:152]
	v_fma_f64 v[149:150], v[102:103], s[24:25], -v[153:154]
	v_mul_f64 v[167:168], v[106:107], s[30:31]
	v_add_f64 v[159:160], v[159:160], v[77:78]
	v_add_f64 v[77:78], v[94:95], v[81:82]
	v_fma_f64 v[81:82], v[118:119], s[20:21], v[157:158]
	v_add_f64 v[92:93], v[92:93], v[155:156]
	v_fma_f64 v[94:95], v[120:121], s[20:21], -v[171:172]
	s_mov_b32 s43, 0x3fea55e2
	s_mov_b32 s42, s22
	v_add_f64 v[134:135], v[136:137], v[134:135]
	v_add_f64 v[136:137], v[149:150], v[79:80]
	v_fma_f64 v[79:80], v[104:105], s[24:25], v[167:168]
	v_add_f64 v[77:78], v[81:82], v[77:78]
	v_mul_f64 v[149:150], v[100:101], s[42:43]
	v_add_f64 v[81:82], v[94:95], v[92:93]
	v_fma_f64 v[92:93], v[110:111], s[12:13], v[173:174]
	v_mul_f64 v[94:95], v[98:99], s[42:43]
	v_fma_f64 v[151:152], v[112:113], s[12:13], -v[151:152]
	v_fma_f64 v[138:139], v[85:86], s[26:27], v[138:139]
	v_mul_f64 v[155:156], v[132:133], s[40:41]
	v_mul_f64 v[171:172], v[130:131], s[40:41]
	v_fma_f64 v[147:148], v[96:97], s[26:27], -v[147:148]
	v_add_f64 v[134:135], v[79:80], v[134:135]
	v_fma_f64 v[157:158], v[85:86], s[16:17], -v[149:150]
	v_add_f64 v[92:93], v[92:93], v[77:78]
	v_fma_f64 v[169:170], v[96:97], s[16:17], v[94:95]
	v_add_f64 v[151:152], v[151:152], v[81:82]
	v_fma_f64 v[81:82], v[126:127], s[12:13], -v[155:156]
	v_add_f64 v[77:78], v[138:139], v[140:141]
	v_fma_f64 v[138:139], v[128:129], s[12:13], v[171:172]
	v_mul_f64 v[140:141], v[122:123], s[22:23]
	v_fma_f64 v[153:154], v[102:103], s[24:25], v[153:154]
	v_fma_f64 v[167:168], v[104:105], s[24:25], -v[167:168]
	v_add_f64 v[79:80], v[147:148], v[159:160]
	v_mul_f64 v[173:174], v[124:125], s[22:23]
	v_add_f64 v[147:148], v[81:82], v[83:84]
	v_add_f64 v[81:82], v[157:158], v[136:137]
	;; [unrolled: 1-line block ×4, first 2 shown]
	v_fma_f64 v[136:137], v[120:121], s[16:17], v[140:141]
	v_add_f64 v[92:93], v[153:154], v[92:93]
	v_add_f64 v[151:152], v[167:168], v[151:152]
	v_fma_f64 v[149:150], v[85:86], s[16:17], v[149:150]
	v_fma_f64 v[94:95], v[96:97], s[16:17], -v[94:95]
	v_fma_f64 v[159:160], v[118:119], s[16:17], -v[173:174]
	v_mul_f64 v[175:176], v[116:117], s[30:31]
	v_mul_f64 v[138:139], v[114:115], s[30:31]
	v_add_f64 v[134:135], v[136:137], v[134:135]
	v_fma_f64 v[136:137], v[126:127], s[12:13], v[155:156]
	v_mul_f64 v[157:158], v[108:109], s[44:45]
	v_add_f64 v[92:93], v[149:150], v[92:93]
	v_fma_f64 v[149:150], v[128:129], s[12:13], -v[171:172]
	v_add_f64 v[94:95], v[94:95], v[151:152]
	v_fma_f64 v[151:152], v[118:119], s[16:17], v[173:174]
	v_add_f64 v[147:148], v[159:160], v[147:148]
	v_fma_f64 v[153:154], v[110:111], s[24:25], -v[175:176]
	v_add_f64 v[136:137], v[136:137], v[165:166]
	v_fma_f64 v[140:141], v[120:121], s[16:17], -v[140:141]
	v_mul_f64 v[132:133], v[132:133], s[44:45]
	v_add_f64 v[149:150], v[149:150], v[163:164]
	v_mul_f64 v[130:131], v[130:131], s[44:45]
	v_fma_f64 v[155:156], v[112:113], s[24:25], v[138:139]
	v_mul_f64 v[159:160], v[106:107], s[44:45]
	v_add_f64 v[147:148], v[153:154], v[147:148]
	v_add_f64 v[136:137], v[151:152], v[136:137]
	v_fma_f64 v[151:152], v[110:111], s[24:25], v[175:176]
	v_fma_f64 v[153:154], v[102:103], s[20:21], -v[157:158]
	v_add_f64 v[140:141], v[140:141], v[149:150]
	v_fma_f64 v[138:139], v[112:113], s[24:25], -v[138:139]
	v_fma_f64 v[163:164], v[126:127], s[20:21], -v[132:133]
	v_mul_f64 v[124:125], v[124:125], s[10:11]
	v_mul_f64 v[122:123], v[122:123], s[10:11]
	v_fma_f64 v[126:127], v[126:127], s[20:21], v[132:133]
	v_add_f64 v[136:137], v[151:152], v[136:137]
	v_fma_f64 v[151:152], v[102:103], s[20:21], v[157:158]
	v_fma_f64 v[157:158], v[128:129], s[20:21], v[130:131]
	v_fma_f64 v[128:129], v[128:129], s[20:21], -v[130:131]
	v_add_f64 v[147:148], v[153:154], v[147:148]
	v_fma_f64 v[153:154], v[104:105], s[20:21], v[159:160]
	v_add_f64 v[138:139], v[138:139], v[140:141]
	v_fma_f64 v[140:141], v[104:105], s[20:21], -v[159:160]
	v_add_f64 v[145:146], v[163:164], v[145:146]
	v_fma_f64 v[132:133], v[118:119], s[26:27], -v[124:125]
	v_mul_f64 v[116:117], v[116:117], s[42:43]
	v_add_f64 v[157:158], v[157:158], v[177:178]
	v_fma_f64 v[159:160], v[120:121], s[26:27], v[122:123]
	v_mul_f64 v[114:115], v[114:115], s[42:43]
	v_add_f64 v[126:127], v[126:127], v[183:184]
	v_fma_f64 v[118:119], v[118:119], s[26:27], v[124:125]
	v_add_f64 v[128:129], v[128:129], v[189:190]
	v_fma_f64 v[120:121], v[120:121], s[26:27], -v[122:123]
	v_add_f64 v[130:131], v[151:152], v[136:137]
	v_add_f64 v[124:125], v[132:133], v[145:146]
	v_fma_f64 v[132:133], v[110:111], s[16:17], -v[116:117]
	v_add_f64 v[136:137], v[159:160], v[157:158]
	v_mul_f64 v[108:109], v[108:109], s[4:5]
	v_fma_f64 v[122:123], v[112:113], s[16:17], v[114:115]
	v_mul_f64 v[106:107], v[106:107], s[4:5]
	v_add_f64 v[118:119], v[118:119], v[126:127]
	v_fma_f64 v[110:111], v[110:111], s[16:17], v[116:117]
	v_add_f64 v[120:121], v[120:121], v[128:129]
	v_fma_f64 v[112:113], v[112:113], s[16:17], -v[114:115]
	v_add_f64 v[134:135], v[155:156], v[134:135]
	v_mul_f64 v[155:156], v[100:101], s[4:5]
	v_mul_f64 v[161:162], v[98:99], s[4:5]
	v_add_f64 v[124:125], v[132:133], v[124:125]
	v_fma_f64 v[114:115], v[102:103], s[6:7], -v[108:109]
	v_add_f64 v[122:123], v[122:123], v[136:137]
	v_fma_f64 v[102:103], v[102:103], s[6:7], v[108:109]
	v_fma_f64 v[108:109], v[104:105], s[6:7], v[106:107]
	v_mul_f64 v[100:101], v[100:101], s[40:41]
	v_mul_f64 v[98:99], v[98:99], s[40:41]
	v_add_f64 v[110:111], v[110:111], v[118:119]
	v_add_f64 v[112:113], v[112:113], v[120:121]
	v_fma_f64 v[104:105], v[104:105], s[6:7], -v[106:107]
	v_add_f64 v[134:135], v[153:154], v[134:135]
	v_fma_f64 v[153:154], v[85:86], s[6:7], -v[155:156]
	v_fma_f64 v[149:150], v[96:97], s[6:7], v[161:162]
	v_add_f64 v[106:107], v[114:115], v[124:125]
	v_add_f64 v[108:109], v[108:109], v[122:123]
	v_fma_f64 v[120:121], v[85:86], s[12:13], -v[100:101]
	v_fma_f64 v[122:123], v[96:97], s[12:13], v[98:99]
	v_fma_f64 v[114:115], v[85:86], s[6:7], v[155:156]
	v_add_f64 v[110:111], v[102:103], v[110:111]
	v_add_f64 v[112:113], v[104:105], v[112:113]
	v_fma_f64 v[85:86], v[85:86], s[12:13], v[100:101]
	v_fma_f64 v[124:125], v[96:97], s[12:13], -v[98:99]
	v_add_f64 v[116:117], v[140:141], v[138:139]
	v_fma_f64 v[118:119], v[96:97], s[6:7], -v[161:162]
	ds_read_b128 v[12:15], v89 offset:5008
	v_add_f64 v[96:97], v[153:154], v[147:148]
	v_add_f64 v[98:99], v[149:150], v[134:135]
	;; [unrolled: 1-line block ×4, first 2 shown]
	s_movk_i32 s33, 0xd0
	v_add_f64 v[108:109], v[85:86], v[110:111]
	v_add_f64 v[110:111], v[124:125], v[112:113]
	v_mad_u32_u24 v60, v88, s33, v60
	v_cmp_gt_u32_e32 vcc, 12, v88
	v_add_f64 v[100:101], v[114:115], v[130:131]
	v_add_f64 v[102:103], v[118:119], v[116:117]
	s_waitcnt lgkmcnt(0)
	; wave barrier
	s_waitcnt lgkmcnt(0)
	ds_write_b128 v60, v[56:59]
	ds_write_b128 v60, v[52:55] offset:16
	ds_write_b128 v60, v[65:68] offset:32
	;; [unrolled: 1-line block ×12, first 2 shown]
	s_and_saveexec_b64 s[36:37], vcc
	s_cbranch_execz .LBB0_15
; %bb.14:
	v_add_f64 v[136:137], v[46:47], v[14:15]
	v_add_f64 v[134:135], v[50:51], v[18:19]
	v_add_f64 v[108:109], v[44:45], -v[12:13]
	v_add_f64 v[120:121], v[46:47], -v[14:15]
	v_add_f64 v[132:133], v[42:43], v[10:11]
	v_add_f64 v[102:103], v[48:49], -v[16:17]
	v_add_f64 v[124:125], v[50:51], -v[18:19]
	v_add_f64 v[114:115], v[44:45], v[12:13]
	v_mul_f64 v[52:53], v[136:137], s[24:25]
	v_mul_f64 v[54:55], v[134:135], s[20:21]
	v_add_f64 v[130:131], v[38:39], v[6:7]
	v_mul_f64 v[60:61], v[120:121], s[18:19]
	v_add_f64 v[98:99], v[40:41], -v[8:9]
	v_mul_f64 v[58:59], v[132:133], s[26:27]
	v_add_f64 v[116:117], v[42:43], -v[10:11]
	v_add_f64 v[112:113], v[48:49], v[16:17]
	v_fma_f64 v[56:57], v[108:109], s[30:31], v[52:53]
	v_fma_f64 v[62:63], v[102:103], s[28:29], v[54:55]
	v_mul_f64 v[66:67], v[124:125], s[44:45]
	v_fma_f64 v[70:71], v[114:115], s[24:25], v[60:61]
	v_fma_f64 v[52:53], v[108:109], s[18:19], v[52:53]
	v_add_f64 v[128:129], v[34:35], v[22:23]
	v_add_f64 v[94:95], v[36:37], -v[4:5]
	v_add_f64 v[126:127], v[38:39], -v[6:7]
	v_add_f64 v[56:57], v[2:3], v[56:57]
	v_mul_f64 v[64:65], v[130:131], s[16:17]
	v_fma_f64 v[68:69], v[98:99], s[34:35], v[58:59]
	v_add_f64 v[100:101], v[40:41], v[8:9]
	v_mul_f64 v[72:73], v[116:117], s[10:11]
	v_fma_f64 v[76:77], v[112:113], s[20:21], v[66:67]
	v_add_f64 v[70:71], v[0:1], v[70:71]
	v_fma_f64 v[54:55], v[102:103], s[44:45], v[54:55]
	v_add_f64 v[56:57], v[62:63], v[56:57]
	v_add_f64 v[52:53], v[2:3], v[52:53]
	v_add_f64 v[92:93], v[32:33], -v[20:21]
	v_add_f64 v[122:123], v[34:35], -v[22:23]
	v_add_f64 v[96:97], v[36:37], v[4:5]
	v_mul_f64 v[62:63], v[128:129], s[6:7]
	v_fma_f64 v[74:75], v[94:95], s[22:23], v[64:65]
	v_mul_f64 v[78:79], v[126:127], s[42:43]
	v_add_f64 v[56:57], v[68:69], v[56:57]
	v_fma_f64 v[84:85], v[100:101], s[26:27], v[72:73]
	v_add_f64 v[70:71], v[76:77], v[70:71]
	v_fma_f64 v[58:59], v[98:99], s[10:11], v[58:59]
	v_add_f64 v[52:53], v[54:55], v[52:53]
	v_add_f64 v[118:119], v[30:31], v[26:27]
	v_fma_f64 v[82:83], v[92:93], s[38:39], v[62:63]
	v_add_f64 v[104:105], v[32:33], v[20:21]
	v_add_f64 v[56:57], v[74:75], v[56:57]
	v_mul_f64 v[74:75], v[122:123], s[4:5]
	v_fma_f64 v[76:77], v[96:97], s[16:17], v[78:79]
	v_add_f64 v[70:71], v[84:85], v[70:71]
	v_fma_f64 v[64:65], v[94:95], s[42:43], v[64:65]
	v_add_f64 v[52:53], v[58:59], v[52:53]
	v_add_f64 v[80:81], v[28:29], -v[24:25]
	v_add_f64 v[110:111], v[30:31], -v[26:27]
	v_mul_f64 v[68:69], v[118:119], s[12:13]
	v_add_f64 v[56:57], v[82:83], v[56:57]
	v_fma_f64 v[82:83], v[104:105], s[6:7], v[74:75]
	v_fma_f64 v[60:61], v[114:115], s[24:25], -v[60:61]
	v_add_f64 v[70:71], v[76:77], v[70:71]
	v_fma_f64 v[62:63], v[92:93], s[4:5], v[62:63]
	v_add_f64 v[52:53], v[64:65], v[52:53]
	v_fma_f64 v[64:65], v[112:113], s[20:21], -v[66:67]
	v_mul_f64 v[66:67], v[136:137], s[26:27]
	v_fma_f64 v[54:55], v[80:81], s[14:15], v[68:69]
	v_add_f64 v[106:107], v[28:29], v[24:25]
	v_mul_f64 v[58:59], v[110:111], s[40:41]
	v_add_f64 v[60:61], v[0:1], v[60:61]
	v_add_f64 v[70:71], v[82:83], v[70:71]
	v_add_f64 v[62:63], v[62:63], v[52:53]
	v_mul_f64 v[76:77], v[120:121], s[10:11]
	v_fma_f64 v[52:53], v[100:101], s[26:27], -v[72:73]
	v_mul_f64 v[72:73], v[134:135], s[12:13]
	v_fma_f64 v[82:83], v[108:109], s[34:35], v[66:67]
	v_add_f64 v[54:55], v[54:55], v[56:57]
	v_fma_f64 v[56:57], v[106:107], s[12:13], v[58:59]
	v_add_f64 v[60:61], v[64:65], v[60:61]
	v_fma_f64 v[64:65], v[106:107], s[12:13], -v[58:59]
	v_fma_f64 v[58:59], v[96:97], s[16:17], -v[78:79]
	v_mul_f64 v[78:79], v[124:125], s[40:41]
	v_fma_f64 v[84:85], v[114:115], s[26:27], v[76:77]
	v_mul_f64 v[86:87], v[132:133], s[16:17]
	v_fma_f64 v[138:139], v[102:103], s[14:15], v[72:73]
	v_add_f64 v[82:83], v[2:3], v[82:83]
	v_add_f64 v[52:53], v[52:53], v[60:61]
	v_fma_f64 v[60:61], v[104:105], s[6:7], -v[74:75]
	v_mul_f64 v[74:75], v[116:117], s[22:23]
	v_fma_f64 v[140:141], v[112:113], s[12:13], v[78:79]
	v_add_f64 v[84:85], v[0:1], v[84:85]
	v_mul_f64 v[145:146], v[130:131], s[24:25]
	v_fma_f64 v[147:148], v[98:99], s[42:43], v[86:87]
	v_add_f64 v[82:83], v[138:139], v[82:83]
	v_fma_f64 v[66:67], v[108:109], s[10:11], v[66:67]
	v_add_f64 v[52:53], v[58:59], v[52:53]
	v_mul_f64 v[138:139], v[126:127], s[30:31]
	v_fma_f64 v[58:59], v[100:101], s[16:17], v[74:75]
	v_add_f64 v[84:85], v[140:141], v[84:85]
	v_mul_f64 v[140:141], v[128:129], s[20:21]
	v_fma_f64 v[149:150], v[94:95], s[18:19], v[145:146]
	v_add_f64 v[82:83], v[147:148], v[82:83]
	v_fma_f64 v[72:73], v[102:103], s[40:41], v[72:73]
	v_add_f64 v[66:67], v[2:3], v[66:67]
	;; [unrolled: 8-line block ×3, first 2 shown]
	v_fma_f64 v[68:69], v[80:81], s[40:41], v[68:69]
	v_mul_f64 v[149:150], v[110:111], s[4:5]
	v_fma_f64 v[155:156], v[104:105], s[20:21], v[147:148]
	v_add_f64 v[58:59], v[151:152], v[58:59]
	v_add_f64 v[60:61], v[60:61], v[52:53]
	v_fma_f64 v[72:73], v[80:81], s[38:39], v[84:85]
	v_add_f64 v[82:83], v[153:154], v[82:83]
	v_fma_f64 v[145:146], v[94:95], s[30:31], v[145:146]
	v_add_f64 v[66:67], v[86:87], v[66:67]
	v_add_f64 v[52:53], v[56:57], v[70:71]
	v_fma_f64 v[70:71], v[106:107], s[6:7], v[149:150]
	v_add_f64 v[86:87], v[155:156], v[58:59]
	v_add_f64 v[58:59], v[68:69], v[62:63]
	;; [unrolled: 1-line block ×4, first 2 shown]
	v_fma_f64 v[64:65], v[92:93], s[44:45], v[140:141]
	v_mul_f64 v[68:69], v[136:137], s[6:7]
	v_fma_f64 v[72:73], v[114:115], s[26:27], -v[76:77]
	v_add_f64 v[66:67], v[145:146], v[66:67]
	v_mul_f64 v[76:77], v[120:121], s[4:5]
	v_add_f64 v[60:61], v[70:71], v[86:87]
	v_fma_f64 v[70:71], v[80:81], s[4:5], v[84:85]
	v_fma_f64 v[78:79], v[112:113], s[12:13], -v[78:79]
	v_mul_f64 v[82:83], v[134:135], s[26:27]
	v_fma_f64 v[84:85], v[108:109], s[38:39], v[68:69]
	v_add_f64 v[72:73], v[0:1], v[72:73]
	v_add_f64 v[64:65], v[64:65], v[66:67]
	v_fma_f64 v[66:67], v[100:101], s[16:17], -v[74:75]
	v_mul_f64 v[74:75], v[124:125], s[34:35]
	v_fma_f64 v[86:87], v[114:115], s[6:7], v[76:77]
	v_mul_f64 v[140:141], v[132:133], s[20:21]
	v_fma_f64 v[145:146], v[102:103], s[10:11], v[82:83]
	v_add_f64 v[84:85], v[2:3], v[84:85]
	v_add_f64 v[72:73], v[78:79], v[72:73]
	v_fma_f64 v[78:79], v[96:97], s[24:25], -v[138:139]
	v_mul_f64 v[138:139], v[116:117], s[44:45]
	v_fma_f64 v[151:152], v[112:113], s[26:27], v[74:75]
	v_add_f64 v[86:87], v[0:1], v[86:87]
	v_mul_f64 v[153:154], v[130:131], s[12:13]
	v_fma_f64 v[155:156], v[98:99], s[28:29], v[140:141]
	v_add_f64 v[84:85], v[145:146], v[84:85]
	v_add_f64 v[66:67], v[66:67], v[72:73]
	v_fma_f64 v[72:73], v[104:105], s[20:21], -v[147:148]
	v_mul_f64 v[145:146], v[126:127], s[14:15]
	v_fma_f64 v[147:148], v[100:101], s[20:21], v[138:139]
	v_add_f64 v[86:87], v[151:152], v[86:87]
	v_mul_f64 v[151:152], v[128:129], s[24:25]
	v_fma_f64 v[157:158], v[94:95], s[40:41], v[153:154]
	v_add_f64 v[84:85], v[155:156], v[84:85]
	v_add_f64 v[66:67], v[78:79], v[66:67]
	v_mul_f64 v[78:79], v[122:123], s[30:31]
	v_fma_f64 v[68:69], v[108:109], s[4:5], v[68:69]
	v_fma_f64 v[155:156], v[96:97], s[12:13], v[145:146]
	v_add_f64 v[86:87], v[147:148], v[86:87]
	v_mul_f64 v[147:148], v[118:119], s[16:17]
	v_fma_f64 v[159:160], v[92:93], s[18:19], v[151:152]
	v_add_f64 v[84:85], v[157:158], v[84:85]
	v_mul_f64 v[157:158], v[110:111], s[42:43]
	v_fma_f64 v[82:83], v[102:103], s[34:35], v[82:83]
	v_add_f64 v[68:69], v[2:3], v[68:69]
	v_fma_f64 v[161:162], v[104:105], s[24:25], v[78:79]
	v_add_f64 v[86:87], v[155:156], v[86:87]
	v_fma_f64 v[149:150], v[106:107], s[6:7], -v[149:150]
	v_add_f64 v[66:67], v[72:73], v[66:67]
	v_fma_f64 v[72:73], v[80:81], s[22:23], v[147:148]
	v_add_f64 v[84:85], v[159:160], v[84:85]
	v_fma_f64 v[140:141], v[98:99], s[44:45], v[140:141]
	;; [unrolled: 2-line block ×3, first 2 shown]
	v_add_f64 v[86:87], v[161:162], v[86:87]
	v_fma_f64 v[76:77], v[114:115], s[6:7], -v[76:77]
	v_add_f64 v[68:69], v[149:150], v[66:67]
	v_mul_f64 v[149:150], v[136:137], s[12:13]
	v_add_f64 v[70:71], v[70:71], v[64:65]
	v_fma_f64 v[153:154], v[94:95], s[14:15], v[153:154]
	v_add_f64 v[82:83], v[140:141], v[82:83]
	v_add_f64 v[66:67], v[72:73], v[84:85]
	;; [unrolled: 1-line block ×3, first 2 shown]
	v_fma_f64 v[72:73], v[92:93], s[30:31], v[151:152]
	v_mul_f64 v[84:85], v[134:135], s[24:25]
	v_fma_f64 v[86:87], v[108:109], s[40:41], v[149:150]
	v_fma_f64 v[74:75], v[112:113], s[26:27], -v[74:75]
	v_add_f64 v[76:77], v[0:1], v[76:77]
	v_mul_f64 v[151:152], v[120:121], s[14:15]
	v_add_f64 v[82:83], v[153:154], v[82:83]
	v_fma_f64 v[140:141], v[80:81], s[42:43], v[147:148]
	v_mul_f64 v[147:148], v[132:133], s[6:7]
	v_fma_f64 v[153:154], v[102:103], s[30:31], v[84:85]
	v_add_f64 v[86:87], v[2:3], v[86:87]
	v_fma_f64 v[138:139], v[100:101], s[20:21], -v[138:139]
	v_add_f64 v[74:75], v[74:75], v[76:77]
	v_mul_f64 v[155:156], v[124:125], s[18:19]
	v_fma_f64 v[76:77], v[114:115], s[12:13], v[151:152]
	v_add_f64 v[72:73], v[72:73], v[82:83]
	v_mul_f64 v[82:83], v[130:131], s[20:21]
	v_fma_f64 v[159:160], v[98:99], s[4:5], v[147:148]
	v_add_f64 v[86:87], v[153:154], v[86:87]
	v_fma_f64 v[145:146], v[96:97], s[12:13], -v[145:146]
	v_add_f64 v[74:75], v[138:139], v[74:75]
	v_mul_f64 v[153:154], v[116:117], s[38:39]
	v_fma_f64 v[161:162], v[112:113], s[24:25], v[155:156]
	v_add_f64 v[76:77], v[0:1], v[76:77]
	v_fma_f64 v[163:164], v[94:95], s[28:29], v[82:83]
	v_fma_f64 v[78:79], v[104:105], s[24:25], -v[78:79]
	v_add_f64 v[86:87], v[159:160], v[86:87]
	v_mul_f64 v[159:160], v[126:127], s[44:45]
	v_add_f64 v[74:75], v[145:146], v[74:75]
	v_fma_f64 v[165:166], v[100:101], s[6:7], v[153:154]
	v_mul_f64 v[138:139], v[128:129], s[16:17]
	v_add_f64 v[76:77], v[161:162], v[76:77]
	v_fma_f64 v[157:158], v[106:107], s[16:17], -v[157:158]
	v_fma_f64 v[149:150], v[108:109], s[14:15], v[149:150]
	v_add_f64 v[86:87], v[163:164], v[86:87]
	v_mul_f64 v[163:164], v[122:123], s[22:23]
	v_add_f64 v[74:75], v[78:79], v[74:75]
	v_fma_f64 v[167:168], v[96:97], s[20:21], v[159:160]
	v_mul_f64 v[145:146], v[118:119], s[26:27]
	v_add_f64 v[76:77], v[165:166], v[76:77]
	v_fma_f64 v[161:162], v[92:93], s[42:43], v[138:139]
	v_add_f64 v[78:79], v[140:141], v[72:73]
	v_fma_f64 v[84:85], v[102:103], s[18:19], v[84:85]
	v_fma_f64 v[72:73], v[104:105], s[16:17], v[163:164]
	v_add_f64 v[140:141], v[2:3], v[149:150]
	v_fma_f64 v[147:148], v[98:99], s[38:39], v[147:148]
	v_fma_f64 v[165:166], v[80:81], s[34:35], v[145:146]
	v_add_f64 v[149:150], v[167:168], v[76:77]
	v_add_f64 v[76:77], v[157:158], v[74:75]
	v_mul_f64 v[157:158], v[136:137], s[16:17]
	v_add_f64 v[86:87], v[161:162], v[86:87]
	v_fma_f64 v[151:152], v[114:115], s[12:13], -v[151:152]
	v_add_f64 v[84:85], v[84:85], v[140:141]
	v_fma_f64 v[140:141], v[80:81], s[10:11], v[145:146]
	v_mul_f64 v[145:146], v[134:135], s[6:7]
	v_add_f64 v[72:73], v[72:73], v[149:150]
	v_fma_f64 v[82:83], v[94:95], s[44:45], v[82:83]
	v_fma_f64 v[149:150], v[108:109], s[42:43], v[157:158]
	v_add_f64 v[74:75], v[165:166], v[86:87]
	v_fma_f64 v[155:156], v[112:113], s[24:25], -v[155:156]
	v_add_f64 v[151:152], v[0:1], v[151:152]
	v_add_f64 v[84:85], v[147:148], v[84:85]
	v_mul_f64 v[147:148], v[120:121], s[22:23]
	v_mul_f64 v[165:166], v[132:133], s[24:25]
	v_fma_f64 v[167:168], v[102:103], s[38:39], v[145:146]
	v_add_f64 v[149:150], v[2:3], v[149:150]
	v_add_f64 v[46:47], v[2:3], v[46:47]
	;; [unrolled: 1-line block ×3, first 2 shown]
	v_fma_f64 v[153:154], v[100:101], s[6:7], -v[153:154]
	v_add_f64 v[151:152], v[155:156], v[151:152]
	v_add_f64 v[82:83], v[82:83], v[84:85]
	v_mul_f64 v[155:156], v[124:125], s[4:5]
	v_fma_f64 v[84:85], v[114:115], s[16:17], v[147:148]
	v_mul_f64 v[169:170], v[130:131], s[26:27]
	v_fma_f64 v[171:172], v[98:99], s[30:31], v[165:166]
	v_add_f64 v[149:150], v[167:168], v[149:150]
	v_add_f64 v[46:47], v[46:47], v[50:51]
	;; [unrolled: 1-line block ×3, first 2 shown]
	v_fma_f64 v[159:160], v[96:97], s[20:21], -v[159:160]
	v_add_f64 v[151:152], v[153:154], v[151:152]
	v_fma_f64 v[167:168], v[112:113], s[6:7], v[155:156]
	v_add_f64 v[84:85], v[0:1], v[84:85]
	v_mul_f64 v[173:174], v[128:129], s[12:13]
	v_fma_f64 v[175:176], v[94:95], s[10:11], v[169:170]
	v_add_f64 v[149:150], v[171:172], v[149:150]
	v_add_f64 v[42:43], v[46:47], v[42:43]
	;; [unrolled: 1-line block ×3, first 2 shown]
	v_mul_f64 v[161:162], v[110:111], s[10:11]
	v_fma_f64 v[138:139], v[92:93], s[22:23], v[138:139]
	v_fma_f64 v[163:164], v[104:105], s[16:17], -v[163:164]
	v_add_f64 v[151:152], v[159:160], v[151:152]
	v_add_f64 v[84:85], v[167:168], v[84:85]
	v_mul_f64 v[167:168], v[118:119], s[20:21]
	v_fma_f64 v[177:178], v[92:93], s[14:15], v[173:174]
	v_add_f64 v[149:150], v[175:176], v[149:150]
	v_add_f64 v[38:39], v[42:43], v[38:39]
	;; [unrolled: 1-line block ×3, first 2 shown]
	v_fma_f64 v[86:87], v[106:107], s[26:27], v[161:162]
	v_mul_f64 v[153:154], v[116:117], s[18:19]
	v_add_f64 v[82:83], v[138:139], v[82:83]
	v_add_f64 v[151:152], v[163:164], v[151:152]
	v_fma_f64 v[163:164], v[80:81], s[28:29], v[167:168]
	v_add_f64 v[149:150], v[177:178], v[149:150]
	v_fma_f64 v[157:158], v[108:109], s[22:23], v[157:158]
	v_add_f64 v[34:35], v[38:39], v[34:35]
	v_add_f64 v[32:33], v[40:41], v[32:33]
	v_fma_f64 v[171:172], v[100:101], s[24:25], v[153:154]
	v_add_f64 v[72:73], v[86:87], v[72:73]
	;; [unrolled: 3-line block ×3, first 2 shown]
	v_add_f64 v[149:150], v[2:3], v[157:158]
	v_fma_f64 v[147:148], v[114:115], s[16:17], -v[147:148]
	v_mul_f64 v[136:137], v[136:137], s[20:21]
	v_mul_f64 v[38:39], v[120:121], s[28:29]
	v_add_f64 v[30:31], v[34:35], v[30:31]
	v_add_f64 v[28:29], v[32:33], v[28:29]
	v_fma_f64 v[138:139], v[106:107], s[26:27], -v[161:162]
	v_mul_f64 v[161:162], v[122:123], s[40:41]
	v_add_f64 v[84:85], v[171:172], v[84:85]
	v_mul_f64 v[171:172], v[110:111], s[44:45]
	v_fma_f64 v[163:164], v[98:99], s[18:19], v[165:166]
	v_add_f64 v[145:146], v[145:146], v[149:150]
	v_fma_f64 v[149:150], v[112:113], s[6:7], -v[155:156]
	v_add_f64 v[147:148], v[0:1], v[147:148]
	v_mul_f64 v[134:135], v[134:135], s[16:17]
	v_fma_f64 v[165:166], v[108:109], s[44:45], v[136:137]
	v_mul_f64 v[40:41], v[110:111], s[18:19]
	v_mul_f64 v[110:111], v[122:123], s[10:11]
	v_fma_f64 v[108:109], v[108:109], s[28:29], v[136:137]
	v_mul_f64 v[122:123], v[124:125], s[22:23]
	v_fma_f64 v[32:33], v[114:115], s[20:21], -v[38:39]
	v_fma_f64 v[38:39], v[114:115], s[20:21], v[38:39]
	v_add_f64 v[26:27], v[30:31], v[26:27]
	v_add_f64 v[24:25], v[28:29], v[24:25]
	v_mul_f64 v[159:160], v[126:127], s[34:35]
	v_fma_f64 v[155:156], v[94:95], s[34:35], v[169:170]
	v_add_f64 v[145:146], v[163:164], v[145:146]
	v_fma_f64 v[153:154], v[100:101], s[24:25], -v[153:154]
	v_add_f64 v[147:148], v[149:150], v[147:148]
	v_mul_f64 v[132:133], v[132:133], s[12:13]
	v_fma_f64 v[149:150], v[102:103], s[42:43], v[134:135]
	v_add_f64 v[163:164], v[2:3], v[165:166]
	v_mul_f64 v[34:35], v[116:117], s[14:15]
	v_fma_f64 v[102:103], v[102:103], s[22:23], v[134:135]
	v_add_f64 v[2:3], v[2:3], v[108:109]
	v_fma_f64 v[108:109], v[112:113], s[16:17], -v[122:123]
	v_add_f64 v[28:29], v[0:1], v[32:33]
	v_fma_f64 v[30:31], v[112:113], s[16:17], v[122:123]
	v_add_f64 v[0:1], v[0:1], v[38:39]
	v_add_f64 v[22:23], v[26:27], v[22:23]
	;; [unrolled: 1-line block ×3, first 2 shown]
	v_fma_f64 v[175:176], v[96:97], s[26:27], v[159:160]
	v_fma_f64 v[157:158], v[92:93], s[40:41], v[173:174]
	v_add_f64 v[48:49], v[155:156], v[145:146]
	v_fma_f64 v[50:51], v[96:97], s[26:27], -v[159:160]
	v_add_f64 v[145:146], v[153:154], v[147:148]
	v_mul_f64 v[130:131], v[130:131], s[6:7]
	v_mul_f64 v[120:121], v[126:127], s[4:5]
	v_fma_f64 v[32:33], v[98:99], s[14:15], v[132:133]
	v_add_f64 v[2:3], v[102:103], v[2:3]
	v_fma_f64 v[38:39], v[100:101], s[12:13], -v[34:35]
	v_add_f64 v[24:25], v[108:109], v[28:29]
	v_fma_f64 v[147:148], v[98:99], s[40:41], v[132:133]
	v_add_f64 v[149:150], v[149:150], v[163:164]
	v_fma_f64 v[26:27], v[100:101], s[12:13], v[34:35]
	v_add_f64 v[0:1], v[30:31], v[0:1]
	v_add_f64 v[6:7], v[22:23], v[6:7]
	;; [unrolled: 1-line block ×5, first 2 shown]
	v_fma_f64 v[151:152], v[80:81], s[44:45], v[167:168]
	v_add_f64 v[44:45], v[157:158], v[48:49]
	v_fma_f64 v[46:47], v[104:105], s[12:13], -v[161:162]
	v_add_f64 v[48:49], v[50:51], v[145:146]
	v_mul_f64 v[50:51], v[128:129], s[26:27]
	v_fma_f64 v[28:29], v[94:95], s[4:5], v[130:131]
	v_add_f64 v[2:3], v[32:33], v[2:3]
	v_fma_f64 v[30:31], v[96:97], s[6:7], -v[120:121]
	v_add_f64 v[20:21], v[38:39], v[24:25]
	v_fma_f64 v[128:129], v[94:95], s[38:39], v[130:131]
	v_add_f64 v[145:146], v[147:148], v[149:150]
	v_fma_f64 v[22:23], v[96:97], s[6:7], v[120:121]
	v_add_f64 v[0:1], v[26:27], v[0:1]
	v_add_f64 v[6:7], v[6:7], v[10:11]
	v_add_f64 v[4:5], v[4:5], v[8:9]
	v_add_f64 v[36:37], v[151:152], v[44:45]
	v_add_f64 v[44:45], v[46:47], v[48:49]
	v_mul_f64 v[46:47], v[118:119], s[24:25]
	v_fma_f64 v[24:25], v[92:93], s[10:11], v[50:51]
	v_add_f64 v[2:3], v[28:29], v[2:3]
	v_fma_f64 v[26:27], v[104:105], s[26:27], -v[110:111]
	v_add_f64 v[8:9], v[30:31], v[20:21]
	v_fma_f64 v[177:178], v[104:105], s[12:13], v[161:162]
	v_fma_f64 v[48:49], v[92:93], s[34:35], v[50:51]
	v_add_f64 v[118:119], v[128:129], v[145:146]
	v_fma_f64 v[10:11], v[104:105], s[26:27], v[110:111]
	v_add_f64 v[0:1], v[22:23], v[0:1]
	v_add_f64 v[6:7], v[6:7], v[18:19]
	;; [unrolled: 1-line block ×3, first 2 shown]
	v_fma_f64 v[20:21], v[80:81], s[18:19], v[46:47]
	v_add_f64 v[2:3], v[24:25], v[2:3]
	v_fma_f64 v[22:23], v[106:107], s[24:25], -v[40:41]
	v_add_f64 v[8:9], v[26:27], v[8:9]
	v_fma_f64 v[42:43], v[106:107], s[20:21], -v[171:172]
	v_fma_f64 v[138:139], v[106:107], s[20:21], v[171:172]
	v_add_f64 v[140:141], v[177:178], v[175:176]
	v_fma_f64 v[16:17], v[80:81], s[30:31], v[46:47]
	v_add_f64 v[18:19], v[48:49], v[118:119]
	;; [unrolled: 2-line block ×3, first 2 shown]
	v_add_f64 v[6:7], v[6:7], v[14:15]
	v_add_f64 v[4:5], v[4:5], v[12:13]
	;; [unrolled: 1-line block ×5, first 2 shown]
	v_mul_i32_i24_e32 v12, 0xd0, v143
	v_add3_u32 v12, 0, v12, v144
	v_add_f64 v[80:81], v[138:139], v[140:141]
	v_add_f64 v[10:11], v[16:17], v[18:19]
	;; [unrolled: 1-line block ×3, first 2 shown]
	ds_write_b128 v12, v[4:7]
	ds_write_b128 v12, v[0:3] offset:16
	ds_write_b128 v12, v[34:37] offset:32
	;; [unrolled: 1-line block ×12, first 2 shown]
.LBB0_15:
	s_or_b64 exec, exec, s[36:37]
	v_lshlrev_b32_e32 v31, 2, v88
	v_mov_b32_e32 v32, 0
	v_lshlrev_b64 v[0:1], 4, v[31:32]
	v_mov_b32_e32 v64, s9
	v_add_co_u32_e32 v33, vcc, s8, v0
	v_addc_co_u32_e32 v34, vcc, v64, v1, vcc
	s_waitcnt lgkmcnt(0)
	; wave barrier
	s_waitcnt lgkmcnt(0)
	global_load_dwordx4 v[8:11], v[33:34], off
	global_load_dwordx4 v[16:19], v[33:34], off offset:16
	global_load_dwordx4 v[20:23], v[33:34], off offset:32
	;; [unrolled: 1-line block ×3, first 2 shown]
	v_add_u32_e32 v65, 26, v88
	s_movk_i32 s4, 0x4f
	v_mul_lo_u16_sdwa v1, v65, s4 dst_sel:DWORD dst_unused:UNUSED_PAD src0_sel:BYTE_0 src1_sel:DWORD
	v_lshrrev_b16_e32 v1, 10, v1
	v_mul_lo_u16_e32 v1, 13, v1
	v_mov_b32_e32 v0, 6
	v_sub_u16_e32 v68, v65, v1
	v_lshlrev_b32_sdwa v1, v0, v68 dst_sel:DWORD dst_unused:UNUSED_PAD src0_sel:DWORD src1_sel:BYTE_0
	global_load_dwordx4 v[28:31], v1, s[8:9] offset:16
	global_load_dwordx4 v[35:38], v1, s[8:9]
	v_add_u32_e32 v67, 39, v88
	ds_read_b128 v[39:42], v89 offset:1040
	ds_read_b128 v[43:46], v89 offset:1248
	global_load_dwordx4 v[47:50], v1, s[8:9] offset:48
	global_load_dwordx4 v[51:54], v1, s[8:9] offset:32
	v_mul_lo_u16_sdwa v1, v67, s4 dst_sel:DWORD dst_unused:UNUSED_PAD src0_sel:BYTE_0 src1_sel:DWORD
	v_lshrrev_b16_e32 v1, 10, v1
	v_mul_lo_u16_e32 v1, 13, v1
	v_sub_u16_e32 v69, v67, v1
	v_lshlrev_b32_sdwa v1, v0, v69 dst_sel:DWORD dst_unused:UNUSED_PAD src0_sel:DWORD src1_sel:BYTE_0
	ds_read_b128 v[55:58], v89 offset:3120
	ds_read_b128 v[59:62], v89 offset:3328
	global_load_dwordx4 v[71:74], v1, s[8:9] offset:16
	global_load_dwordx4 v[75:78], v1, s[8:9]
	ds_read_b128 v[79:82], v142
	ds_read_b128 v[12:15], v89 offset:416
	ds_read_b128 v[83:86], v89 offset:2288
	;; [unrolled: 1-line block ×3, first 2 shown]
	global_load_dwordx4 v[96:99], v1, s[8:9] offset:48
	global_load_dwordx4 v[100:103], v1, s[8:9] offset:32
	v_add_u32_e32 v66, 52, v88
	v_mul_lo_u16_sdwa v1, v66, s4 dst_sel:DWORD dst_unused:UNUSED_PAD src0_sel:BYTE_0 src1_sel:DWORD
	v_lshrrev_b16_e32 v1, 10, v1
	v_mul_lo_u16_e32 v1, 13, v1
	v_sub_u16_e32 v70, v66, v1
	v_lshlrev_b32_sdwa v87, v0, v70 dst_sel:DWORD dst_unused:UNUSED_PAD src0_sel:DWORD src1_sel:BYTE_0
	ds_read_b128 v[104:107], v89 offset:4368
	ds_read_b128 v[108:111], v89 offset:4576
	global_load_dwordx4 v[112:115], v87, s[8:9] offset:16
	global_load_dwordx4 v[116:119], v87, s[8:9]
	ds_read_b128 v[120:123], v89 offset:1456
	ds_read_b128 v[124:127], v89 offset:1664
	ds_read_b128 v[128:131], v89 offset:3536
	ds_read_b128 v[132:135], v89 offset:3744
	ds_read_b128 v[4:7], v89 offset:624
	ds_read_b128 v[0:3], v89 offset:832
	ds_read_b128 v[136:139], v89 offset:2080
	ds_read_b128 v[145:148], v89 offset:1872
	global_load_dwordx4 v[149:152], v87, s[8:9] offset:48
	global_load_dwordx4 v[153:156], v87, s[8:9] offset:32
	ds_read_b128 v[157:160], v89 offset:2704
	ds_read_b128 v[161:164], v89 offset:2912
	;; [unrolled: 1-line block ×6, first 2 shown]
	s_mov_b32 s4, 0x134454ff
	s_mov_b32 s5, 0x3fee6f0e
	;; [unrolled: 1-line block ×10, first 2 shown]
	v_lshlrev_b32_e32 v63, 4, v143
	v_add3_u32 v63, 0, v63, v144
	ds_read_b128 v[181:184], v63
	s_waitcnt lgkmcnt(0)
	; wave barrier
	s_waitcnt vmcnt(15) lgkmcnt(0)
	v_mul_f64 v[140:141], v[41:42], v[10:11]
	v_mul_f64 v[185:186], v[39:40], v[10:11]
	s_waitcnt vmcnt(14)
	v_mul_f64 v[187:188], v[138:139], v[18:19]
	v_mul_f64 v[189:190], v[136:137], v[18:19]
	s_waitcnt vmcnt(13)
	v_mul_f64 v[191:192], v[57:58], v[22:23]
	v_mul_f64 v[193:194], v[55:56], v[22:23]
	;; [unrolled: 1-line block ×4, first 2 shown]
	s_waitcnt vmcnt(12)
	v_mul_f64 v[197:198], v[165:166], v[26:27]
	v_mul_f64 v[201:202], v[85:86], v[18:19]
	;; [unrolled: 1-line block ×3, first 2 shown]
	v_fma_f64 v[140:141], v[39:40], v[8:9], -v[140:141]
	v_fma_f64 v[185:186], v[41:42], v[8:9], v[185:186]
	v_fma_f64 v[136:137], v[136:137], v[16:17], -v[187:188]
	v_fma_f64 v[138:139], v[138:139], v[16:17], v[189:190]
	v_fma_f64 v[187:188], v[55:56], v[20:21], -v[191:192]
	v_fma_f64 v[189:190], v[57:58], v[20:21], v[193:194]
	v_mul_f64 v[39:40], v[61:62], v[22:23]
	v_mul_f64 v[22:23], v[59:60], v[22:23]
	v_fma_f64 v[191:192], v[43:44], v[8:9], -v[199:200]
	v_fma_f64 v[193:194], v[45:46], v[8:9], v[10:11]
	s_waitcnt vmcnt(10)
	v_mul_f64 v[8:9], v[122:123], v[37:38]
	v_mul_f64 v[10:11], v[120:121], v[37:38]
	;; [unrolled: 1-line block ×3, first 2 shown]
	v_fma_f64 v[167:168], v[167:168], v[24:25], v[197:198]
	v_mul_f64 v[41:42], v[106:107], v[26:27]
	v_mul_f64 v[26:27], v[104:105], v[26:27]
	v_fma_f64 v[83:84], v[83:84], v[16:17], -v[201:202]
	v_fma_f64 v[85:86], v[85:86], v[16:17], v[18:19]
	v_fma_f64 v[197:198], v[61:62], v[20:21], v[22:23]
	v_mul_f64 v[16:17], v[94:95], v[30:31]
	v_mul_f64 v[18:19], v[92:93], v[30:31]
	s_waitcnt vmcnt(8)
	v_mul_f64 v[22:23], v[128:129], v[53:54]
	v_fma_f64 v[120:121], v[120:121], v[35:36], -v[8:9]
	v_mul_f64 v[8:9], v[110:111], v[49:50]
	v_fma_f64 v[122:123], v[122:123], v[35:36], v[10:11]
	s_waitcnt vmcnt(6)
	v_mul_f64 v[10:11], v[126:127], v[77:78]
	v_fma_f64 v[165:166], v[165:166], v[24:25], -v[195:196]
	v_fma_f64 v[195:196], v[59:60], v[20:21], -v[39:40]
	;; [unrolled: 1-line block ×3, first 2 shown]
	v_fma_f64 v[106:107], v[106:107], v[24:25], v[26:27]
	v_mul_f64 v[20:21], v[130:131], v[53:54]
	v_mul_f64 v[24:25], v[108:109], v[49:50]
	v_fma_f64 v[199:200], v[92:93], v[28:29], -v[16:17]
	v_fma_f64 v[201:202], v[94:95], v[28:29], v[18:19]
	v_fma_f64 v[130:131], v[130:131], v[51:52], v[22:23]
	v_fma_f64 v[108:109], v[108:109], v[47:48], -v[8:9]
	v_mul_f64 v[8:9], v[124:125], v[77:78]
	v_mul_f64 v[16:17], v[159:160], v[73:74]
	;; [unrolled: 1-line block ×3, first 2 shown]
	s_waitcnt vmcnt(4)
	v_mul_f64 v[22:23], v[132:133], v[102:103]
	v_fma_f64 v[124:125], v[124:125], v[75:76], -v[10:11]
	v_mul_f64 v[10:11], v[175:176], v[98:99]
	v_fma_f64 v[128:129], v[128:129], v[51:52], -v[20:21]
	v_fma_f64 v[110:111], v[110:111], v[47:48], v[24:25]
	v_mul_f64 v[20:21], v[134:135], v[102:103]
	v_mul_f64 v[24:25], v[173:174], v[98:99]
	v_fma_f64 v[49:50], v[126:127], v[75:76], v[8:9]
	v_fma_f64 v[59:60], v[157:158], v[71:72], -v[16:17]
	v_fma_f64 v[51:52], v[159:160], v[71:72], v[18:19]
	v_fma_f64 v[53:54], v[134:135], v[100:101], v[22:23]
	s_waitcnt vmcnt(2)
	v_mul_f64 v[8:9], v[147:148], v[118:119]
	v_fma_f64 v[126:127], v[173:174], v[96:97], -v[10:11]
	v_mul_f64 v[10:11], v[145:146], v[118:119]
	v_mul_f64 v[16:17], v[163:164], v[114:115]
	v_add_f64 v[18:19], v[79:80], v[140:141]
	v_add_f64 v[22:23], v[136:137], v[187:188]
	v_fma_f64 v[61:62], v[132:133], v[100:101], -v[20:21]
	v_fma_f64 v[55:56], v[175:176], v[96:97], v[24:25]
	v_mul_f64 v[20:21], v[161:162], v[114:115]
	v_fma_f64 v[41:42], v[145:146], v[116:117], -v[8:9]
	s_waitcnt vmcnt(0)
	v_mul_f64 v[8:9], v[171:172], v[155:156]
	v_mul_f64 v[24:25], v[169:170], v[155:156]
	v_fma_f64 v[37:38], v[147:148], v[116:117], v[10:11]
	v_fma_f64 v[43:44], v[161:162], v[112:113], -v[16:17]
	v_add_f64 v[10:11], v[18:19], v[136:137]
	v_fma_f64 v[16:17], v[22:23], -0.5, v[79:80]
	v_add_f64 v[18:19], v[185:186], -v[167:168]
	v_fma_f64 v[39:40], v[163:164], v[112:113], v[20:21]
	v_fma_f64 v[45:46], v[169:170], v[153:154], -v[8:9]
	v_fma_f64 v[35:36], v[171:172], v[153:154], v[24:25]
	v_mul_f64 v[8:9], v[179:180], v[151:152]
	v_mul_f64 v[20:21], v[177:178], v[151:152]
	v_add_f64 v[10:11], v[10:11], v[187:188]
	v_add_f64 v[24:25], v[138:139], -v[189:190]
	v_fma_f64 v[22:23], v[18:19], s[4:5], v[16:17]
	v_add_f64 v[26:27], v[140:141], v[165:166]
	v_add_f64 v[28:29], v[140:141], -v[136:137]
	v_add_f64 v[30:31], v[165:166], -v[187:188]
	v_fma_f64 v[57:58], v[177:178], v[149:150], -v[8:9]
	v_fma_f64 v[47:48], v[179:180], v[149:150], v[20:21]
	v_add_f64 v[8:9], v[10:11], v[165:166]
	v_fma_f64 v[16:17], v[18:19], s[10:11], v[16:17]
	v_fma_f64 v[20:21], v[24:25], s[6:7], v[22:23]
	v_fma_f64 v[10:11], v[26:27], -0.5, v[79:80]
	v_add_f64 v[26:27], v[138:139], v[189:190]
	v_add_f64 v[22:23], v[28:29], v[30:31]
	v_add_f64 v[30:31], v[136:137], -v[140:141]
	v_add_f64 v[71:72], v[187:188], -v[165:166]
	v_add_f64 v[73:74], v[81:82], v[185:186]
	v_add_f64 v[75:76], v[140:141], -v[165:166]
	v_fma_f64 v[16:17], v[24:25], s[12:13], v[16:17]
	v_fma_f64 v[28:29], v[24:25], s[10:11], v[10:11]
	;; [unrolled: 1-line block ×3, first 2 shown]
	v_fma_f64 v[26:27], v[26:27], -0.5, v[81:82]
	v_add_f64 v[77:78], v[136:137], -v[187:188]
	v_add_f64 v[30:31], v[30:31], v[71:72]
	v_add_f64 v[71:72], v[185:186], v[167:168]
	v_add_f64 v[92:93], v[189:190], -v[167:168]
	v_fma_f64 v[16:17], v[22:23], s[14:15], v[16:17]
	v_fma_f64 v[24:25], v[18:19], s[6:7], v[28:29]
	;; [unrolled: 1-line block ×3, first 2 shown]
	v_add_f64 v[18:19], v[73:74], v[138:139]
	v_fma_f64 v[73:74], v[75:76], s[10:11], v[26:27]
	v_fma_f64 v[28:29], v[22:23], s[14:15], v[20:21]
	v_fma_f64 v[22:23], v[71:72], -0.5, v[81:82]
	v_add_f64 v[71:72], v[83:84], v[195:196]
	v_fma_f64 v[26:27], v[75:76], s[4:5], v[26:27]
	v_fma_f64 v[24:25], v[30:31], s[14:15], v[24:25]
	;; [unrolled: 1-line block ×3, first 2 shown]
	v_add_f64 v[10:11], v[18:19], v[189:190]
	v_fma_f64 v[18:19], v[77:78], s[12:13], v[73:74]
	v_add_f64 v[30:31], v[185:186], -v[138:139]
	v_add_f64 v[73:74], v[167:168], -v[189:190]
	v_fma_f64 v[79:80], v[77:78], s[4:5], v[22:23]
	v_fma_f64 v[22:23], v[77:78], s[10:11], v[22:23]
	v_add_f64 v[81:82], v[138:139], -v[185:186]
	v_add_f64 v[94:95], v[181:182], v[191:192]
	v_fma_f64 v[71:72], v[71:72], -0.5, v[181:182]
	v_add_f64 v[96:97], v[193:194], -v[106:107]
	v_fma_f64 v[26:27], v[77:78], s[6:7], v[26:27]
	v_add_f64 v[73:74], v[30:31], v[73:74]
	v_fma_f64 v[77:78], v[75:76], s[12:13], v[79:80]
	v_fma_f64 v[22:23], v[75:76], s[6:7], v[22:23]
	v_add_f64 v[75:76], v[191:192], v[104:105]
	v_add_f64 v[79:80], v[81:82], v[92:93]
	;; [unrolled: 1-line block ×3, first 2 shown]
	v_fma_f64 v[92:93], v[96:97], s[4:5], v[71:72]
	v_add_f64 v[94:95], v[85:86], -v[197:198]
	v_fma_f64 v[30:31], v[73:74], s[14:15], v[18:19]
	v_fma_f64 v[18:19], v[73:74], s[14:15], v[26:27]
	;; [unrolled: 1-line block ×3, first 2 shown]
	v_fma_f64 v[73:74], v[75:76], -0.5, v[181:182]
	v_fma_f64 v[26:27], v[79:80], s[14:15], v[77:78]
	v_fma_f64 v[22:23], v[79:80], s[14:15], v[22:23]
	v_add_f64 v[75:76], v[81:82], v[195:196]
	v_fma_f64 v[77:78], v[94:95], s[6:7], v[92:93]
	v_add_f64 v[79:80], v[191:192], -v[83:84]
	v_add_f64 v[81:82], v[85:86], v[197:198]
	v_add_f64 v[92:93], v[104:105], -v[195:196]
	v_fma_f64 v[98:99], v[94:95], s[10:11], v[73:74]
	v_fma_f64 v[73:74], v[94:95], s[4:5], v[73:74]
	v_add_f64 v[100:101], v[83:84], -v[191:192]
	v_add_f64 v[102:103], v[195:196], -v[104:105]
	v_add_f64 v[112:113], v[183:184], v[193:194]
	v_add_f64 v[114:115], v[191:192], -v[104:105]
	v_fma_f64 v[81:82], v[81:82], -0.5, v[183:184]
	v_add_f64 v[79:80], v[79:80], v[92:93]
	v_fma_f64 v[92:93], v[94:95], s[12:13], v[71:72]
	v_fma_f64 v[94:95], v[96:97], s[6:7], v[98:99]
	;; [unrolled: 1-line block ×3, first 2 shown]
	v_add_f64 v[96:97], v[193:194], v[106:107]
	v_add_f64 v[98:99], v[100:101], v[102:103]
	;; [unrolled: 1-line block ×3, first 2 shown]
	v_fma_f64 v[102:103], v[114:115], s[10:11], v[81:82]
	v_add_f64 v[112:113], v[83:84], -v[195:196]
	v_add_f64 v[71:72], v[75:76], v[104:105]
	v_fma_f64 v[75:76], v[79:80], s[14:15], v[77:78]
	v_fma_f64 v[79:80], v[79:80], s[14:15], v[92:93]
	v_fma_f64 v[77:78], v[96:97], -0.5, v[183:184]
	v_fma_f64 v[83:84], v[98:99], s[14:15], v[94:95]
	v_fma_f64 v[92:93], v[98:99], s[14:15], v[73:74]
	v_add_f64 v[73:74], v[100:101], v[197:198]
	v_fma_f64 v[94:95], v[112:113], s[12:13], v[102:103]
	v_add_f64 v[96:97], v[193:194], -v[85:86]
	v_add_f64 v[98:99], v[199:200], v[128:129]
	v_add_f64 v[100:101], v[106:107], -v[197:198]
	v_fma_f64 v[102:103], v[112:113], s[4:5], v[77:78]
	v_add_f64 v[85:86], v[85:86], -v[193:194]
	v_add_f64 v[104:105], v[197:198], -v[106:107]
	v_fma_f64 v[77:78], v[112:113], s[10:11], v[77:78]
	v_fma_f64 v[81:82], v[114:115], s[4:5], v[81:82]
	v_add_f64 v[116:117], v[12:13], v[120:121]
	v_fma_f64 v[98:99], v[98:99], -0.5, v[12:13]
	v_add_f64 v[118:119], v[122:123], -v[110:111]
	v_add_f64 v[96:97], v[96:97], v[100:101]
	v_fma_f64 v[100:101], v[114:115], s[12:13], v[102:103]
	v_add_f64 v[102:103], v[85:86], v[104:105]
	v_fma_f64 v[104:105], v[114:115], s[6:7], v[77:78]
	;; [unrolled: 2-line block ×4, first 2 shown]
	v_add_f64 v[132:133], v[201:202], -v[130:131]
	v_fma_f64 v[77:78], v[96:97], s[14:15], v[94:95]
	v_fma_f64 v[85:86], v[102:103], s[14:15], v[100:101]
	v_fma_f64 v[94:95], v[102:103], s[14:15], v[104:105]
	v_fma_f64 v[12:13], v[114:115], -0.5, v[12:13]
	v_fma_f64 v[81:82], v[96:97], s[14:15], v[81:82]
	v_add_f64 v[96:97], v[112:113], v[128:129]
	v_add_f64 v[102:103], v[120:121], -v[199:200]
	v_fma_f64 v[100:101], v[132:133], s[6:7], v[116:117]
	v_add_f64 v[104:105], v[14:15], v[122:123]
	v_add_f64 v[112:113], v[108:109], -v[128:129]
	v_fma_f64 v[98:99], v[118:119], s[10:11], v[98:99]
	v_fma_f64 v[114:115], v[132:133], s[10:11], v[12:13]
	v_add_f64 v[116:117], v[199:200], -v[120:121]
	v_add_f64 v[134:135], v[128:129], -v[108:109]
	v_fma_f64 v[12:13], v[132:133], s[4:5], v[12:13]
	v_add_f64 v[73:74], v[73:74], v[106:107]
	v_add_f64 v[106:107], v[201:202], v[130:131]
	;; [unrolled: 1-line block ×4, first 2 shown]
	v_fma_f64 v[98:99], v[132:133], s[12:13], v[98:99]
	v_fma_f64 v[112:113], v[118:119], s[6:7], v[114:115]
	v_add_f64 v[114:115], v[116:117], v[134:135]
	v_fma_f64 v[116:117], v[118:119], s[12:13], v[12:13]
	v_add_f64 v[132:133], v[122:123], v[110:111]
	v_fma_f64 v[106:107], v[106:107], -0.5, v[14:15]
	v_add_f64 v[120:121], v[120:121], -v[108:109]
	v_add_f64 v[118:119], v[104:105], v[130:131]
	v_add_f64 v[128:129], v[199:200], -v[128:129]
	v_add_f64 v[12:13], v[96:97], v[108:109]
	v_fma_f64 v[96:97], v[102:103], s[14:15], v[100:101]
	v_fma_f64 v[100:101], v[102:103], s[14:15], v[98:99]
	;; [unrolled: 1-line block ×4, first 2 shown]
	v_fma_f64 v[98:99], v[132:133], -0.5, v[14:15]
	v_add_f64 v[112:113], v[122:123], -v[201:202]
	v_add_f64 v[114:115], v[110:111], -v[130:131]
	v_add_f64 v[116:117], v[4:5], v[124:125]
	v_fma_f64 v[134:135], v[120:121], s[10:11], v[106:107]
	v_add_f64 v[14:15], v[118:119], v[110:111]
	v_fma_f64 v[106:107], v[120:121], s[4:5], v[106:107]
	v_add_f64 v[118:119], v[59:60], v[61:62]
	v_fma_f64 v[132:133], v[128:129], s[4:5], v[98:99]
	v_add_f64 v[122:123], v[201:202], -v[122:123]
	v_add_f64 v[110:111], v[130:131], -v[110:111]
	v_fma_f64 v[98:99], v[128:129], s[10:11], v[98:99]
	v_add_f64 v[112:113], v[112:113], v[114:115]
	v_add_f64 v[114:115], v[116:117], v[59:60]
	v_fma_f64 v[102:103], v[128:129], s[12:13], v[134:135]
	v_fma_f64 v[106:107], v[128:129], s[6:7], v[106:107]
	v_fma_f64 v[116:117], v[118:119], -0.5, v[4:5]
	v_add_f64 v[118:119], v[49:50], -v[55:56]
	v_fma_f64 v[128:129], v[120:121], s[12:13], v[132:133]
	v_add_f64 v[110:111], v[122:123], v[110:111]
	v_fma_f64 v[120:121], v[120:121], s[6:7], v[98:99]
	v_add_f64 v[122:123], v[124:125], v[126:127]
	v_add_f64 v[114:115], v[114:115], v[61:62]
	v_fma_f64 v[98:99], v[112:113], s[14:15], v[102:103]
	v_fma_f64 v[102:103], v[112:113], s[14:15], v[106:107]
	;; [unrolled: 1-line block ×3, first 2 shown]
	v_add_f64 v[130:131], v[51:52], -v[53:54]
	v_fma_f64 v[106:107], v[110:111], s[14:15], v[128:129]
	v_fma_f64 v[110:111], v[110:111], s[14:15], v[120:121]
	v_fma_f64 v[120:121], v[122:123], -0.5, v[4:5]
	v_add_f64 v[4:5], v[114:115], v[126:127]
	v_add_f64 v[114:115], v[124:125], -v[59:60]
	v_add_f64 v[122:123], v[126:127], -v[61:62]
	v_fma_f64 v[116:117], v[118:119], s[10:11], v[116:117]
	v_add_f64 v[128:129], v[6:7], v[49:50]
	v_fma_f64 v[112:113], v[130:131], s[6:7], v[112:113]
	v_add_f64 v[136:137], v[59:60], -v[124:125]
	v_fma_f64 v[134:135], v[130:131], s[10:11], v[120:121]
	v_add_f64 v[138:139], v[61:62], -v[126:127]
	v_fma_f64 v[120:121], v[130:131], s[4:5], v[120:121]
	v_add_f64 v[114:115], v[114:115], v[122:123]
	v_fma_f64 v[116:117], v[130:131], s[12:13], v[116:117]
	v_add_f64 v[122:123], v[128:129], v[51:52]
	v_add_f64 v[132:133], v[51:52], v[53:54]
	v_add_f64 v[124:125], v[124:125], -v[126:127]
	v_fma_f64 v[126:127], v[118:119], s[6:7], v[134:135]
	v_add_f64 v[130:131], v[136:137], v[138:139]
	v_add_f64 v[61:62], v[59:60], -v[61:62]
	v_fma_f64 v[112:113], v[114:115], s[14:15], v[112:113]
	v_fma_f64 v[116:117], v[114:115], s[14:15], v[116:117]
	;; [unrolled: 1-line block ×3, first 2 shown]
	v_add_f64 v[118:119], v[122:123], v[53:54]
	v_add_f64 v[122:123], v[49:50], v[55:56]
	v_fma_f64 v[128:129], v[132:133], -0.5, v[6:7]
	v_fma_f64 v[59:60], v[130:131], s[14:15], v[126:127]
	v_add_f64 v[126:127], v[43:44], v[45:46]
	v_add_f64 v[134:135], v[49:50], -v[51:52]
	v_add_f64 v[136:137], v[55:56], -v[53:54]
	v_fma_f64 v[120:121], v[130:131], s[14:15], v[114:115]
	v_add_f64 v[49:50], v[51:52], -v[49:50]
	v_fma_f64 v[114:115], v[122:123], -0.5, v[6:7]
	v_fma_f64 v[132:133], v[124:125], s[10:11], v[128:129]
	v_add_f64 v[122:123], v[0:1], v[41:42]
	v_add_f64 v[51:52], v[53:54], -v[55:56]
	v_fma_f64 v[126:127], v[126:127], -0.5, v[0:1]
	v_add_f64 v[130:131], v[37:38], -v[47:48]
	v_fma_f64 v[128:129], v[124:125], s[4:5], v[128:129]
	v_add_f64 v[6:7], v[118:119], v[55:56]
	v_fma_f64 v[53:54], v[61:62], s[10:11], v[114:115]
	v_fma_f64 v[118:119], v[61:62], s[12:13], v[132:133]
	v_add_f64 v[132:133], v[134:135], v[136:137]
	v_fma_f64 v[134:135], v[61:62], s[4:5], v[114:115]
	v_add_f64 v[55:56], v[122:123], v[43:44]
	v_add_f64 v[122:123], v[41:42], -v[43:44]
	v_add_f64 v[138:139], v[57:58], -v[45:46]
	v_add_f64 v[49:50], v[49:50], v[51:52]
	v_fma_f64 v[51:52], v[124:125], s[6:7], v[53:54]
	v_fma_f64 v[114:115], v[130:131], s[4:5], v[126:127]
	v_add_f64 v[136:137], v[39:40], -v[35:36]
	v_fma_f64 v[61:62], v[61:62], s[6:7], v[128:129]
	v_add_f64 v[128:129], v[41:42], v[57:58]
	v_fma_f64 v[134:135], v[124:125], s[12:13], v[134:135]
	v_add_f64 v[53:54], v[55:56], v[45:46]
	v_add_f64 v[124:125], v[122:123], v[138:139]
	v_fma_f64 v[122:123], v[49:50], s[14:15], v[51:52]
	v_add_f64 v[51:52], v[39:40], v[35:36]
	v_fma_f64 v[55:56], v[136:137], s[6:7], v[114:115]
	v_fma_f64 v[114:115], v[132:133], s[14:15], v[118:119]
	;; [unrolled: 1-line block ×3, first 2 shown]
	v_add_f64 v[132:133], v[37:38], v[47:48]
	v_fma_f64 v[128:129], v[128:129], -0.5, v[0:1]
	v_fma_f64 v[61:62], v[49:50], s[14:15], v[134:135]
	v_add_f64 v[0:1], v[53:54], v[57:58]
	v_fma_f64 v[53:54], v[130:131], s[10:11], v[126:127]
	v_add_f64 v[126:127], v[43:44], -v[41:42]
	v_add_f64 v[134:135], v[45:46], -v[57:58]
	v_add_f64 v[138:139], v[2:3], v[37:38]
	v_fma_f64 v[51:52], v[51:52], -0.5, v[2:3]
	v_add_f64 v[41:42], v[41:42], -v[57:58]
	v_add_f64 v[43:44], v[43:44], -v[45:46]
	v_fma_f64 v[2:3], v[132:133], -0.5, v[2:3]
	v_fma_f64 v[49:50], v[124:125], s[14:15], v[55:56]
	v_fma_f64 v[55:56], v[136:137], s[10:11], v[128:129]
	v_add_f64 v[45:46], v[126:127], v[134:135]
	v_add_f64 v[126:127], v[138:139], v[39:40]
	v_fma_f64 v[57:58], v[136:137], s[4:5], v[128:129]
	v_fma_f64 v[128:129], v[41:42], s[10:11], v[51:52]
	v_add_f64 v[132:133], v[37:38], -v[39:40]
	v_add_f64 v[134:135], v[47:48], -v[35:36]
	v_fma_f64 v[53:54], v[136:137], s[12:13], v[53:54]
	v_fma_f64 v[136:137], v[43:44], s[4:5], v[2:3]
	v_add_f64 v[37:38], v[39:40], -v[37:38]
	v_add_f64 v[39:40], v[35:36], -v[47:48]
	v_fma_f64 v[2:3], v[43:44], s[10:11], v[2:3]
	v_fma_f64 v[51:52], v[41:42], s[4:5], v[51:52]
	v_add_f64 v[126:127], v[126:127], v[35:36]
	v_add_f64 v[10:11], v[10:11], v[167:168]
	v_fma_f64 v[55:56], v[130:131], s[6:7], v[55:56]
	v_fma_f64 v[57:58], v[130:131], s[12:13], v[57:58]
	v_fma_f64 v[128:129], v[43:44], s[12:13], v[128:129]
	v_add_f64 v[130:131], v[132:133], v[134:135]
	v_fma_f64 v[134:135], v[41:42], s[12:13], v[136:137]
	v_add_f64 v[136:137], v[37:38], v[39:40]
	v_fma_f64 v[138:139], v[41:42], s[6:7], v[2:3]
	v_fma_f64 v[132:133], v[43:44], s[6:7], v[51:52]
	v_add_f64 v[2:3], v[126:127], v[47:48]
	ds_write_b128 v89, v[8:11]
	ds_write_b128 v89, v[28:31] offset:208
	ds_write_b128 v89, v[24:27] offset:416
	;; [unrolled: 1-line block ×9, first 2 shown]
	v_mov_b32_e32 v8, 4
	v_fma_f64 v[51:52], v[130:131], s[14:15], v[128:129]
	v_fma_f64 v[39:40], v[45:46], s[14:15], v[55:56]
	;; [unrolled: 1-line block ×3, first 2 shown]
	v_lshlrev_b32_sdwa v9, v8, v68 dst_sel:DWORD dst_unused:UNUSED_PAD src0_sel:DWORD src1_sel:BYTE_0
	v_fma_f64 v[43:44], v[45:46], s[14:15], v[57:58]
	v_fma_f64 v[45:46], v[136:137], s[14:15], v[138:139]
	v_add3_u32 v9, 0, v9, v144
	v_fma_f64 v[35:36], v[124:125], s[14:15], v[53:54]
	v_fma_f64 v[37:38], v[130:131], s[14:15], v[132:133]
	ds_write_b128 v9, v[12:15] offset:2080
	ds_write_b128 v9, v[96:99] offset:2288
	;; [unrolled: 1-line block ×5, first 2 shown]
	v_lshlrev_b32_sdwa v9, v8, v69 dst_sel:DWORD dst_unused:UNUSED_PAD src0_sel:DWORD src1_sel:BYTE_0
	v_add3_u32 v9, 0, v9, v144
	ds_write_b128 v9, v[4:7] offset:3120
	ds_write_b128 v9, v[112:115] offset:3328
	;; [unrolled: 1-line block ×5, first 2 shown]
	v_lshlrev_b32_sdwa v4, v8, v70 dst_sel:DWORD dst_unused:UNUSED_PAD src0_sel:DWORD src1_sel:BYTE_0
	v_add3_u32 v4, 0, v4, v144
	ds_write_b128 v4, v[0:3] offset:4160
	ds_write_b128 v4, v[49:52] offset:4368
	;; [unrolled: 1-line block ×5, first 2 shown]
	s_waitcnt lgkmcnt(0)
	; wave barrier
	s_waitcnt lgkmcnt(0)
	global_load_dwordx4 v[8:11], v[33:34], off offset:832
	global_load_dwordx4 v[12:15], v[33:34], off offset:848
	;; [unrolled: 1-line block ×4, first 2 shown]
	v_lshlrev_b32_e32 v31, 2, v143
	v_lshlrev_b64 v[0:1], 4, v[31:32]
	v_lshlrev_b32_e32 v31, 2, v65
	v_add_co_u32_e32 v0, vcc, s8, v0
	v_addc_co_u32_e32 v1, vcc, v64, v1, vcc
	global_load_dwordx4 v[33:36], v[0:1], off offset:832
	global_load_dwordx4 v[37:40], v[0:1], off offset:848
	global_load_dwordx4 v[41:44], v[0:1], off offset:880
	global_load_dwordx4 v[45:48], v[0:1], off offset:864
	v_lshlrev_b64 v[0:1], 4, v[31:32]
	v_lshlrev_b32_e32 v31, 2, v67
	v_add_co_u32_e32 v0, vcc, s8, v0
	v_addc_co_u32_e32 v1, vcc, v64, v1, vcc
	global_load_dwordx4 v[49:52], v[0:1], off offset:832
	global_load_dwordx4 v[53:56], v[0:1], off offset:848
	ds_read_b128 v[57:60], v63
	global_load_dwordx4 v[68:71], v[0:1], off offset:880
	global_load_dwordx4 v[72:75], v[0:1], off offset:864
	v_lshlrev_b64 v[0:1], 4, v[31:32]
	v_lshlrev_b32_e32 v31, 2, v66
	v_add_co_u32_e32 v0, vcc, s8, v0
	v_addc_co_u32_e32 v1, vcc, v64, v1, vcc
	global_load_dwordx4 v[76:79], v[0:1], off offset:848
	global_load_dwordx4 v[80:83], v[0:1], off offset:832
	ds_read_b128 v[84:87], v89 offset:1040
	ds_read_b128 v[92:95], v89 offset:1248
	;; [unrolled: 1-line block ×4, first 2 shown]
	ds_read_b128 v[104:107], v142
	ds_read_b128 v[16:19], v89 offset:416
	global_load_dwordx4 v[108:111], v[0:1], off offset:880
	global_load_dwordx4 v[112:115], v[0:1], off offset:864
	v_lshlrev_b64 v[0:1], 4, v[31:32]
	v_add_co_u32_e32 v61, vcc, s8, v0
	v_addc_co_u32_e32 v62, vcc, v64, v1, vcc
	global_load_dwordx4 v[28:31], v[61:62], off offset:848
	global_load_dwordx4 v[64:67], v[61:62], off offset:832
	ds_read_b128 v[116:119], v89 offset:2288
	ds_read_b128 v[120:123], v89 offset:2496
	;; [unrolled: 1-line block ×14, first 2 shown]
	global_load_dwordx4 v[167:170], v[61:62], off offset:880
	global_load_dwordx4 v[171:174], v[61:62], off offset:864
	ds_read_b128 v[175:178], v89 offset:4160
	ds_read_b128 v[179:182], v89 offset:3952
	;; [unrolled: 1-line block ×4, first 2 shown]
	s_waitcnt lgkmcnt(0)
	; wave barrier
	s_waitcnt vmcnt(19) lgkmcnt(0)
	v_mul_f64 v[61:62], v[86:87], v[10:11]
	v_mul_f64 v[10:11], v[84:85], v[10:11]
	s_waitcnt vmcnt(18)
	v_mul_f64 v[140:141], v[153:154], v[14:15]
	v_mul_f64 v[14:15], v[151:152], v[14:15]
	v_fma_f64 v[61:62], v[84:85], v[8:9], -v[61:62]
	v_fma_f64 v[10:11], v[86:87], v[8:9], v[10:11]
	v_fma_f64 v[8:9], v[151:152], v[12:13], -v[140:141]
	s_waitcnt vmcnt(16)
	v_mul_f64 v[84:85], v[98:99], v[26:27]
	v_fma_f64 v[14:15], v[153:154], v[12:13], v[14:15]
	v_mul_f64 v[12:13], v[96:97], v[26:27]
	v_mul_f64 v[26:27], v[177:178], v[22:23]
	;; [unrolled: 1-line block ×3, first 2 shown]
	s_waitcnt vmcnt(15)
	v_mul_f64 v[86:87], v[94:95], v[35:36]
	v_mul_f64 v[35:36], v[92:93], v[35:36]
	s_waitcnt vmcnt(14)
	v_mul_f64 v[140:141], v[118:119], v[39:40]
	v_fma_f64 v[84:85], v[96:97], v[24:25], -v[84:85]
	v_mul_f64 v[39:40], v[116:117], v[39:40]
	v_fma_f64 v[96:97], v[98:99], v[24:25], v[12:13]
	v_fma_f64 v[12:13], v[175:176], v[20:21], -v[26:27]
	v_fma_f64 v[22:23], v[177:178], v[20:21], v[22:23]
	s_waitcnt vmcnt(12)
	v_mul_f64 v[20:21], v[102:103], v[47:48]
	v_mul_f64 v[24:25], v[100:101], v[47:48]
	v_fma_f64 v[86:87], v[92:93], v[33:34], -v[86:87]
	v_fma_f64 v[92:93], v[94:95], v[33:34], v[35:36]
	v_fma_f64 v[94:95], v[116:117], v[37:38], -v[140:141]
	v_fma_f64 v[98:99], v[118:119], v[37:38], v[39:40]
	v_mul_f64 v[26:27], v[126:127], v[43:44]
	v_mul_f64 v[33:34], v[124:125], v[43:44]
	v_fma_f64 v[100:101], v[100:101], v[45:46], -v[20:21]
	s_waitcnt vmcnt(10)
	v_mul_f64 v[20:21], v[120:121], v[55:56]
	v_mul_f64 v[35:36], v[134:135], v[51:52]
	;; [unrolled: 1-line block ×4, first 2 shown]
	v_fma_f64 v[55:56], v[102:103], v[45:46], v[24:25]
	s_waitcnt vmcnt(8)
	v_mul_f64 v[24:25], v[145:146], v[74:75]
	v_fma_f64 v[102:103], v[124:125], v[41:42], -v[26:27]
	v_fma_f64 v[116:117], v[126:127], v[41:42], v[33:34]
	v_fma_f64 v[122:123], v[122:123], v[53:54], v[20:21]
	v_mul_f64 v[20:21], v[143:144], v[74:75]
	v_fma_f64 v[118:119], v[132:133], v[49:50], -v[35:36]
	v_fma_f64 v[124:125], v[134:135], v[49:50], v[37:38]
	v_fma_f64 v[120:121], v[120:121], v[53:54], -v[39:40]
	v_mul_f64 v[26:27], v[130:131], v[70:71]
	v_mul_f64 v[33:34], v[128:129], v[70:71]
	s_waitcnt vmcnt(6)
	v_mul_f64 v[35:36], v[138:139], v[82:83]
	v_mul_f64 v[37:38], v[136:137], v[82:83]
	;; [unrolled: 1-line block ×3, first 2 shown]
	v_fma_f64 v[82:83], v[143:144], v[72:73], -v[24:25]
	v_mul_f64 v[24:25], v[159:160], v[78:79]
	v_fma_f64 v[78:79], v[145:146], v[72:73], v[20:21]
	s_waitcnt vmcnt(4)
	v_mul_f64 v[20:21], v[149:150], v[114:115]
	v_fma_f64 v[126:127], v[128:129], v[68:69], -v[26:27]
	v_fma_f64 v[128:129], v[130:131], v[68:69], v[33:34]
	v_fma_f64 v[130:131], v[136:137], v[80:81], -v[35:36]
	v_fma_f64 v[132:133], v[159:160], v[76:77], -v[39:40]
	v_mul_f64 v[26:27], v[185:186], v[110:111]
	v_mul_f64 v[33:34], v[183:184], v[110:111]
	s_waitcnt vmcnt(2)
	v_mul_f64 v[35:36], v[157:158], v[66:67]
	v_mul_f64 v[39:40], v[155:156], v[66:67]
	v_fma_f64 v[110:111], v[147:148], v[112:113], -v[20:21]
	v_add_f64 v[20:21], v[8:9], v[84:85]
	v_fma_f64 v[45:46], v[138:139], v[80:81], v[37:38]
	v_fma_f64 v[47:48], v[161:162], v[76:77], v[24:25]
	v_mul_f64 v[24:25], v[147:148], v[114:115]
	v_mul_f64 v[41:42], v[165:166], v[30:31]
	v_fma_f64 v[114:115], v[183:184], v[108:109], -v[26:27]
	v_fma_f64 v[134:135], v[185:186], v[108:109], v[33:34]
	v_fma_f64 v[37:38], v[155:156], v[64:65], -v[35:36]
	v_fma_f64 v[33:34], v[157:158], v[64:65], v[39:40]
	v_fma_f64 v[20:21], v[20:21], -0.5, v[104:105]
	v_add_f64 v[26:27], v[10:11], -v[22:23]
	v_mul_f64 v[30:31], v[163:164], v[30:31]
	v_add_f64 v[64:65], v[61:62], v[12:13]
	v_fma_f64 v[112:113], v[149:150], v[112:113], v[24:25]
	v_fma_f64 v[35:36], v[163:164], v[28:29], -v[41:42]
	v_add_f64 v[24:25], v[104:105], v[61:62]
	s_waitcnt vmcnt(0)
	v_mul_f64 v[39:40], v[181:182], v[173:174]
	v_mul_f64 v[53:54], v[187:188], v[169:170]
	v_fma_f64 v[66:67], v[26:27], s[4:5], v[20:21]
	v_add_f64 v[68:69], v[14:15], -v[96:97]
	v_fma_f64 v[43:44], v[165:166], v[28:29], v[30:31]
	v_fma_f64 v[28:29], v[64:65], -0.5, v[104:105]
	v_add_f64 v[64:65], v[14:15], v[96:97]
	v_add_f64 v[24:25], v[24:25], v[8:9]
	v_fma_f64 v[49:50], v[179:180], v[171:172], -v[39:40]
	v_fma_f64 v[39:40], v[189:190], v[167:168], v[53:54]
	v_add_f64 v[53:54], v[61:62], -v[8:9]
	v_fma_f64 v[30:31], v[68:69], s[6:7], v[66:67]
	v_add_f64 v[66:67], v[12:13], -v[84:85]
	v_fma_f64 v[70:71], v[68:69], s[10:11], v[28:29]
	v_fma_f64 v[20:21], v[26:27], s[10:11], v[20:21]
	v_add_f64 v[24:25], v[24:25], v[84:85]
	v_add_f64 v[72:73], v[8:9], -v[61:62]
	v_add_f64 v[74:75], v[84:85], -v[12:13]
	v_fma_f64 v[28:29], v[68:69], s[4:5], v[28:29]
	v_add_f64 v[76:77], v[106:107], v[10:11]
	v_add_f64 v[53:54], v[53:54], v[66:67]
	v_fma_f64 v[66:67], v[26:27], s[6:7], v[70:71]
	v_add_f64 v[70:71], v[10:11], v[22:23]
	v_fma_f64 v[64:65], v[64:65], -0.5, v[106:107]
	v_add_f64 v[61:62], v[61:62], -v[12:13]
	v_fma_f64 v[20:21], v[68:69], s[12:13], v[20:21]
	v_add_f64 v[68:69], v[72:73], v[74:75]
	v_fma_f64 v[26:27], v[26:27], s[12:13], v[28:29]
	v_add_f64 v[72:73], v[76:77], v[14:15]
	v_add_f64 v[76:77], v[8:9], -v[84:85]
	v_add_f64 v[28:29], v[24:25], v[12:13]
	v_fma_f64 v[24:25], v[53:54], s[14:15], v[30:31]
	v_fma_f64 v[30:31], v[70:71], -0.5, v[106:107]
	v_fma_f64 v[74:75], v[61:62], s[10:11], v[64:65]
	v_fma_f64 v[8:9], v[53:54], s[14:15], v[20:21]
	;; [unrolled: 1-line block ×4, first 2 shown]
	v_add_f64 v[26:27], v[72:73], v[96:97]
	v_add_f64 v[66:67], v[10:11], -v[14:15]
	v_add_f64 v[68:69], v[94:95], v[100:101]
	v_add_f64 v[70:71], v[22:23], -v[96:97]
	v_fma_f64 v[72:73], v[76:77], s[4:5], v[30:31]
	v_fma_f64 v[53:54], v[76:77], s[12:13], v[74:75]
	;; [unrolled: 1-line block ×3, first 2 shown]
	v_add_f64 v[10:11], v[14:15], -v[10:11]
	v_add_f64 v[14:15], v[96:97], -v[22:23]
	v_fma_f64 v[30:31], v[76:77], s[10:11], v[30:31]
	v_add_f64 v[74:75], v[57:58], v[86:87]
	v_fma_f64 v[68:69], v[68:69], -0.5, v[57:58]
	v_add_f64 v[80:81], v[92:93], -v[116:117]
	v_add_f64 v[66:67], v[66:67], v[70:71]
	v_fma_f64 v[70:71], v[61:62], s[12:13], v[72:73]
	v_add_f64 v[72:73], v[86:87], v[102:103]
	v_fma_f64 v[64:65], v[76:77], s[6:7], v[64:65]
	;; [unrolled: 2-line block ×4, first 2 shown]
	v_add_f64 v[84:85], v[98:99], -v[55:56]
	v_add_f64 v[30:31], v[26:27], v[22:23]
	v_fma_f64 v[26:27], v[66:67], s[14:15], v[53:54]
	v_fma_f64 v[53:54], v[72:73], -0.5, v[57:58]
	v_fma_f64 v[10:11], v[66:67], s[14:15], v[64:65]
	v_fma_f64 v[22:23], v[14:15], s[14:15], v[70:71]
	;; [unrolled: 1-line block ×3, first 2 shown]
	v_add_f64 v[57:58], v[74:75], v[100:101]
	v_fma_f64 v[61:62], v[84:85], s[6:7], v[76:77]
	v_add_f64 v[64:65], v[86:87], -v[94:95]
	v_add_f64 v[66:67], v[98:99], v[55:56]
	v_add_f64 v[70:71], v[102:103], -v[100:101]
	v_fma_f64 v[72:73], v[84:85], s[10:11], v[53:54]
	v_add_f64 v[74:75], v[94:95], -v[86:87]
	v_add_f64 v[76:77], v[100:101], -v[102:103]
	v_fma_f64 v[68:69], v[80:81], s[10:11], v[68:69]
	v_fma_f64 v[53:54], v[84:85], s[4:5], v[53:54]
	v_add_f64 v[96:97], v[59:60], v[92:93]
	v_fma_f64 v[66:67], v[66:67], -0.5, v[59:60]
	v_add_f64 v[86:87], v[86:87], -v[102:103]
	v_add_f64 v[64:65], v[64:65], v[70:71]
	v_fma_f64 v[70:71], v[80:81], s[6:7], v[72:73]
	v_add_f64 v[72:73], v[74:75], v[76:77]
	v_add_f64 v[76:77], v[92:93], v[116:117]
	v_fma_f64 v[68:69], v[84:85], s[12:13], v[68:69]
	v_fma_f64 v[74:75], v[80:81], s[12:13], v[53:54]
	v_add_f64 v[80:81], v[96:97], v[98:99]
	v_fma_f64 v[84:85], v[86:87], s[10:11], v[66:67]
	v_add_f64 v[94:95], v[94:95], -v[100:101]
	v_add_f64 v[53:54], v[57:58], v[102:103]
	v_fma_f64 v[57:58], v[64:65], s[14:15], v[61:62]
	v_fma_f64 v[59:60], v[76:77], -0.5, v[59:60]
	v_fma_f64 v[64:65], v[64:65], s[14:15], v[68:69]
	v_fma_f64 v[68:69], v[72:73], s[14:15], v[70:71]
	v_fma_f64 v[72:73], v[72:73], s[14:15], v[74:75]
	v_add_f64 v[61:62], v[80:81], v[55:56]
	v_fma_f64 v[70:71], v[94:95], s[12:13], v[84:85]
	v_add_f64 v[74:75], v[92:93], -v[98:99]
	v_add_f64 v[76:77], v[120:121], v[82:83]
	v_add_f64 v[80:81], v[116:117], -v[55:56]
	v_fma_f64 v[66:67], v[86:87], s[4:5], v[66:67]
	v_fma_f64 v[84:85], v[94:95], s[4:5], v[59:60]
	v_add_f64 v[92:93], v[98:99], -v[92:93]
	v_add_f64 v[55:56], v[55:56], -v[116:117]
	v_fma_f64 v[59:60], v[94:95], s[10:11], v[59:60]
	v_add_f64 v[96:97], v[16:17], v[118:119]
	v_fma_f64 v[76:77], v[76:77], -0.5, v[16:17]
	v_add_f64 v[98:99], v[124:125], -v[128:129]
	v_add_f64 v[74:75], v[74:75], v[80:81]
	v_fma_f64 v[66:67], v[94:95], s[6:7], v[66:67]
	v_fma_f64 v[80:81], v[86:87], s[12:13], v[84:85]
	v_add_f64 v[84:85], v[92:93], v[55:56]
	v_fma_f64 v[86:87], v[86:87], s[6:7], v[59:60]
	v_add_f64 v[92:93], v[96:97], v[120:121]
	v_add_f64 v[94:95], v[118:119], v[126:127]
	v_fma_f64 v[96:97], v[98:99], s[4:5], v[76:77]
	v_add_f64 v[100:101], v[122:123], -v[78:79]
	v_add_f64 v[55:56], v[61:62], v[116:117]
	v_fma_f64 v[59:60], v[74:75], s[14:15], v[70:71]
	v_fma_f64 v[66:67], v[74:75], s[14:15], v[66:67]
	v_fma_f64 v[74:75], v[84:85], s[14:15], v[86:87]
	v_add_f64 v[61:62], v[92:93], v[82:83]
	v_fma_f64 v[16:17], v[94:95], -0.5, v[16:17]
	v_add_f64 v[86:87], v[18:19], v[124:125]
	v_add_f64 v[92:93], v[122:123], v[78:79]
	v_fma_f64 v[76:77], v[98:99], s[10:11], v[76:77]
	v_fma_f64 v[70:71], v[84:85], s[14:15], v[80:81]
	;; [unrolled: 1-line block ×3, first 2 shown]
	v_add_f64 v[84:85], v[118:119], -v[120:121]
	v_add_f64 v[94:95], v[126:127], -v[82:83]
	v_fma_f64 v[96:97], v[100:101], s[10:11], v[16:17]
	v_add_f64 v[102:103], v[120:121], -v[118:119]
	v_add_f64 v[104:105], v[82:83], -v[126:127]
	v_fma_f64 v[16:17], v[100:101], s[4:5], v[16:17]
	v_add_f64 v[86:87], v[86:87], v[122:123]
	v_fma_f64 v[106:107], v[92:93], -0.5, v[18:19]
	v_add_f64 v[108:109], v[118:119], -v[126:127]
	v_fma_f64 v[92:93], v[100:101], s[12:13], v[76:77]
	v_add_f64 v[100:101], v[124:125], v[128:129]
	v_add_f64 v[84:85], v[84:85], v[94:95]
	v_fma_f64 v[94:95], v[98:99], s[6:7], v[96:97]
	v_add_f64 v[96:97], v[102:103], v[104:105]
	v_fma_f64 v[98:99], v[98:99], s[12:13], v[16:17]
	;; [unrolled: 2-line block ×3, first 2 shown]
	v_add_f64 v[82:83], v[120:121], -v[82:83]
	v_add_f64 v[16:17], v[61:62], v[126:127]
	v_fma_f64 v[61:62], v[100:101], -0.5, v[18:19]
	v_fma_f64 v[76:77], v[84:85], s[14:15], v[80:81]
	v_fma_f64 v[80:81], v[84:85], s[14:15], v[92:93]
	;; [unrolled: 1-line block ×4, first 2 shown]
	v_add_f64 v[18:19], v[86:87], v[128:129]
	v_fma_f64 v[86:87], v[82:83], s[12:13], v[102:103]
	v_add_f64 v[94:95], v[124:125], -v[122:123]
	v_add_f64 v[96:97], v[128:129], -v[78:79]
	v_add_f64 v[98:99], v[4:5], v[130:131]
	v_fma_f64 v[100:101], v[108:109], s[4:5], v[106:107]
	v_add_f64 v[102:103], v[132:133], v[110:111]
	v_fma_f64 v[104:105], v[82:83], s[4:5], v[61:62]
	v_add_f64 v[106:107], v[122:123], -v[124:125]
	v_add_f64 v[78:79], v[78:79], -v[128:129]
	v_fma_f64 v[61:62], v[82:83], s[10:11], v[61:62]
	v_add_f64 v[94:95], v[94:95], v[96:97]
	v_add_f64 v[96:97], v[98:99], v[132:133]
	v_fma_f64 v[82:83], v[82:83], s[6:7], v[100:101]
	v_fma_f64 v[98:99], v[102:103], -0.5, v[4:5]
	v_add_f64 v[102:103], v[45:46], -v[134:135]
	v_fma_f64 v[100:101], v[108:109], s[12:13], v[104:105]
	v_add_f64 v[104:105], v[106:107], v[78:79]
	v_fma_f64 v[61:62], v[108:109], s[6:7], v[61:62]
	v_add_f64 v[106:107], v[130:131], v[114:115]
	v_add_f64 v[96:97], v[96:97], v[110:111]
	v_fma_f64 v[78:79], v[94:95], s[14:15], v[86:87]
	v_fma_f64 v[82:83], v[94:95], s[14:15], v[82:83]
	;; [unrolled: 1-line block ×3, first 2 shown]
	v_add_f64 v[116:117], v[47:48], -v[112:113]
	v_fma_f64 v[86:87], v[104:105], s[14:15], v[100:101]
	v_fma_f64 v[94:95], v[104:105], s[14:15], v[61:62]
	v_fma_f64 v[61:62], v[106:107], -0.5, v[4:5]
	v_add_f64 v[4:5], v[96:97], v[114:115]
	v_add_f64 v[96:97], v[130:131], -v[132:133]
	v_add_f64 v[100:101], v[114:115], -v[110:111]
	v_fma_f64 v[98:99], v[102:103], s[10:11], v[98:99]
	v_fma_f64 v[104:105], v[116:117], s[6:7], v[108:109]
	v_add_f64 v[106:107], v[6:7], v[45:46]
	v_add_f64 v[108:109], v[47:48], v[112:113]
	v_fma_f64 v[118:119], v[116:117], s[10:11], v[61:62]
	v_add_f64 v[120:121], v[132:133], -v[130:131]
	v_add_f64 v[122:123], v[110:111], -v[114:115]
	v_fma_f64 v[61:62], v[116:117], s[4:5], v[61:62]
	v_add_f64 v[100:101], v[96:97], v[100:101]
	v_fma_f64 v[98:99], v[116:117], s[12:13], v[98:99]
	v_add_f64 v[106:107], v[106:107], v[47:48]
	v_fma_f64 v[116:117], v[108:109], -0.5, v[6:7]
	v_add_f64 v[114:115], v[130:131], -v[114:115]
	v_fma_f64 v[108:109], v[102:103], s[6:7], v[118:119]
	v_add_f64 v[118:119], v[120:121], v[122:123]
	v_fma_f64 v[61:62], v[102:103], s[12:13], v[61:62]
	v_add_f64 v[102:103], v[45:46], v[134:135]
	v_mul_f64 v[41:42], v[179:180], v[173:174]
	v_mul_f64 v[51:52], v[189:190], v[169:170]
	v_fma_f64 v[96:97], v[100:101], s[14:15], v[104:105]
	v_fma_f64 v[100:101], v[100:101], s[14:15], v[98:99]
	v_add_f64 v[98:99], v[106:107], v[112:113]
	v_fma_f64 v[106:107], v[114:115], s[10:11], v[116:117]
	v_add_f64 v[110:111], v[132:133], -v[110:111]
	v_fma_f64 v[104:105], v[118:119], s[14:15], v[108:109]
	v_add_f64 v[120:121], v[35:36], v[49:50]
	v_add_f64 v[122:123], v[45:46], -v[47:48]
	v_add_f64 v[124:125], v[134:135], -v[112:113]
	v_fma_f64 v[108:109], v[118:119], s[14:15], v[61:62]
	v_fma_f64 v[61:62], v[102:103], -0.5, v[6:7]
	v_fma_f64 v[41:42], v[181:182], v[171:172], v[41:42]
	v_fma_f64 v[51:52], v[187:188], v[167:168], -v[51:52]
	v_add_f64 v[6:7], v[98:99], v[134:135]
	v_fma_f64 v[98:99], v[110:111], s[12:13], v[106:107]
	v_add_f64 v[102:103], v[0:1], v[37:38]
	v_fma_f64 v[118:119], v[120:121], -0.5, v[0:1]
	v_add_f64 v[120:121], v[33:34], -v[39:40]
	v_add_f64 v[106:107], v[122:123], v[124:125]
	v_fma_f64 v[116:117], v[114:115], s[4:5], v[116:117]
	v_fma_f64 v[122:123], v[110:111], s[4:5], v[61:62]
	v_add_f64 v[45:46], v[47:48], -v[45:46]
	v_add_f64 v[47:48], v[112:113], -v[134:135]
	v_fma_f64 v[61:62], v[110:111], s[10:11], v[61:62]
	v_add_f64 v[102:103], v[102:103], v[35:36]
	v_fma_f64 v[112:113], v[120:121], s[4:5], v[118:119]
	v_add_f64 v[124:125], v[43:44], -v[41:42]
	v_add_f64 v[126:127], v[37:38], -v[35:36]
	;; [unrolled: 1-line block ×3, first 2 shown]
	v_fma_f64 v[110:111], v[110:111], s[6:7], v[116:117]
	v_add_f64 v[116:117], v[37:38], v[51:52]
	v_fma_f64 v[122:123], v[114:115], s[12:13], v[122:123]
	v_add_f64 v[45:46], v[45:46], v[47:48]
	;; [unrolled: 2-line block ×4, first 2 shown]
	v_fma_f64 v[98:99], v[106:107], s[14:15], v[98:99]
	v_fma_f64 v[116:117], v[116:117], -0.5, v[0:1]
	v_fma_f64 v[102:103], v[106:107], s[14:15], v[110:111]
	v_fma_f64 v[106:107], v[45:46], s[14:15], v[122:123]
	;; [unrolled: 1-line block ×3, first 2 shown]
	v_add_f64 v[47:48], v[43:44], v[41:42]
	v_add_f64 v[122:123], v[33:34], v[39:40]
	;; [unrolled: 1-line block ×3, first 2 shown]
	v_fma_f64 v[45:46], v[114:115], s[14:15], v[112:113]
	v_fma_f64 v[61:62], v[120:121], s[10:11], v[118:119]
	v_fma_f64 v[112:113], v[124:125], s[10:11], v[116:117]
	v_add_f64 v[118:119], v[35:36], -v[37:38]
	v_add_f64 v[126:127], v[49:50], -v[51:52]
	v_add_f64 v[128:129], v[2:3], v[33:34]
	v_fma_f64 v[47:48], v[47:48], -0.5, v[2:3]
	v_add_f64 v[37:38], v[37:38], -v[51:52]
	v_add_f64 v[35:36], v[35:36], -v[49:50]
	v_fma_f64 v[2:3], v[122:123], -0.5, v[2:3]
	v_fma_f64 v[51:52], v[124:125], s[12:13], v[61:62]
	v_fma_f64 v[61:62], v[120:121], s[6:7], v[112:113]
	v_add_f64 v[49:50], v[118:119], v[126:127]
	v_fma_f64 v[112:113], v[124:125], s[4:5], v[116:117]
	v_add_f64 v[116:117], v[128:129], v[43:44]
	v_fma_f64 v[118:119], v[37:38], s[10:11], v[47:48]
	v_add_f64 v[122:123], v[33:34], -v[43:44]
	v_add_f64 v[124:125], v[39:40], -v[41:42]
	v_fma_f64 v[47:48], v[37:38], s[4:5], v[47:48]
	v_fma_f64 v[126:127], v[35:36], s[4:5], v[2:3]
	v_add_f64 v[33:34], v[43:44], -v[33:34]
	v_add_f64 v[43:44], v[41:42], -v[39:40]
	v_fma_f64 v[2:3], v[35:36], s[10:11], v[2:3]
	v_fma_f64 v[112:113], v[120:121], s[12:13], v[112:113]
	v_add_f64 v[116:117], v[116:117], v[41:42]
	v_fma_f64 v[118:119], v[35:36], s[12:13], v[118:119]
	v_add_f64 v[120:121], v[122:123], v[124:125]
	v_fma_f64 v[35:36], v[35:36], s[6:7], v[47:48]
	v_fma_f64 v[122:123], v[37:38], s[12:13], v[126:127]
	v_add_f64 v[43:44], v[33:34], v[43:44]
	v_fma_f64 v[124:125], v[37:38], s[6:7], v[2:3]
	v_fma_f64 v[33:34], v[114:115], s[14:15], v[51:52]
	;; [unrolled: 1-line block ×4, first 2 shown]
	v_add_f64 v[2:3], v[116:117], v[39:40]
	v_fma_f64 v[47:48], v[120:121], s[14:15], v[118:119]
	v_fma_f64 v[35:36], v[120:121], s[14:15], v[35:36]
	;; [unrolled: 1-line block ×4, first 2 shown]
	ds_write_b128 v89, v[28:31]
	ds_write_b128 v89, v[24:27] offset:1040
	ds_write_b128 v89, v[20:23] offset:2080
	;; [unrolled: 1-line block ×4, first 2 shown]
	ds_write_b128 v63, v[53:56]
	ds_write_b128 v63, v[57:60] offset:1040
	ds_write_b128 v63, v[68:71] offset:2080
	ds_write_b128 v63, v[72:75] offset:3120
	ds_write_b128 v63, v[64:67] offset:4160
	ds_write_b128 v89, v[16:19] offset:416
	ds_write_b128 v89, v[76:79] offset:1456
	ds_write_b128 v89, v[84:87] offset:2496
	ds_write_b128 v89, v[92:95] offset:3536
	ds_write_b128 v89, v[80:83] offset:4576
	ds_write_b128 v89, v[4:7] offset:624
	ds_write_b128 v89, v[96:99] offset:1664
	ds_write_b128 v89, v[104:107] offset:2704
	ds_write_b128 v89, v[108:111] offset:3744
	ds_write_b128 v89, v[100:103] offset:4784
	ds_write_b128 v89, v[0:3] offset:832
	ds_write_b128 v89, v[45:48] offset:1872
	ds_write_b128 v89, v[37:40] offset:2912
	ds_write_b128 v89, v[41:44] offset:3952
	ds_write_b128 v89, v[33:36] offset:4992
	s_waitcnt lgkmcnt(0)
	; wave barrier
	s_waitcnt lgkmcnt(0)
	s_and_saveexec_b64 s[4:5], s[0:1]
	s_cbranch_execz .LBB0_17
; %bb.16:
	v_mov_b32_e32 v89, v32
	ds_read_b128 v[0:3], v142
	v_mov_b32_e32 v4, s3
	v_add_co_u32_e32 v6, vcc, s2, v90
	v_addc_co_u32_e32 v7, vcc, v4, v91, vcc
	v_lshlrev_b64 v[4:5], 4, v[88:89]
	v_add_co_u32_e32 v20, vcc, v6, v4
	v_addc_co_u32_e32 v21, vcc, v7, v5, vcc
	ds_read_b128 v[4:7], v142 offset:208
	ds_read_b128 v[8:11], v142 offset:416
	;; [unrolled: 1-line block ×3, first 2 shown]
	s_waitcnt lgkmcnt(3)
	global_store_dwordx4 v[20:21], v[0:3], off
	ds_read_b128 v[0:3], v142 offset:832
	s_waitcnt lgkmcnt(3)
	global_store_dwordx4 v[20:21], v[4:7], off offset:208
	s_waitcnt lgkmcnt(2)
	global_store_dwordx4 v[20:21], v[8:11], off offset:416
	;; [unrolled: 2-line block ×3, first 2 shown]
	ds_read_b128 v[4:7], v142 offset:1040
	s_waitcnt lgkmcnt(1)
	global_store_dwordx4 v[20:21], v[0:3], off offset:832
	ds_read_b128 v[0:3], v142 offset:1248
	ds_read_b128 v[8:11], v142 offset:1456
	;; [unrolled: 1-line block ×3, first 2 shown]
	s_waitcnt lgkmcnt(3)
	global_store_dwordx4 v[20:21], v[4:7], off offset:1040
	ds_read_b128 v[4:7], v142 offset:1872
	s_waitcnt lgkmcnt(3)
	global_store_dwordx4 v[20:21], v[0:3], off offset:1248
	s_waitcnt lgkmcnt(2)
	global_store_dwordx4 v[20:21], v[8:11], off offset:1456
	;; [unrolled: 2-line block ×3, first 2 shown]
	ds_read_b128 v[0:3], v142 offset:2080
	s_waitcnt lgkmcnt(1)
	global_store_dwordx4 v[20:21], v[4:7], off offset:1872
	ds_read_b128 v[4:7], v142 offset:2288
	ds_read_b128 v[8:11], v142 offset:2496
	;; [unrolled: 1-line block ×3, first 2 shown]
	s_waitcnt lgkmcnt(3)
	global_store_dwordx4 v[20:21], v[0:3], off offset:2080
	ds_read_b128 v[0:3], v142 offset:2912
	s_waitcnt lgkmcnt(3)
	global_store_dwordx4 v[20:21], v[4:7], off offset:2288
	s_waitcnt lgkmcnt(2)
	global_store_dwordx4 v[20:21], v[8:11], off offset:2496
	s_waitcnt lgkmcnt(1)
	global_store_dwordx4 v[20:21], v[12:15], off offset:2704
	ds_read_b128 v[4:7], v142 offset:3120
	s_waitcnt lgkmcnt(1)
	global_store_dwordx4 v[20:21], v[0:3], off offset:2912
	ds_read_b128 v[0:3], v142 offset:3328
	ds_read_b128 v[8:11], v142 offset:3536
	;; [unrolled: 1-line block ×4, first 2 shown]
	s_waitcnt lgkmcnt(4)
	global_store_dwordx4 v[20:21], v[4:7], off offset:3120
	s_waitcnt lgkmcnt(3)
	global_store_dwordx4 v[20:21], v[0:3], off offset:3328
	;; [unrolled: 2-line block ×5, first 2 shown]
	ds_read_b128 v[0:3], v142 offset:4160
	ds_read_b128 v[4:7], v142 offset:4368
	;; [unrolled: 1-line block ×5, first 2 shown]
	v_add_co_u32_e32 v20, vcc, 0x1000, v20
	v_addc_co_u32_e32 v21, vcc, 0, v21, vcc
	s_waitcnt lgkmcnt(4)
	global_store_dwordx4 v[20:21], v[0:3], off offset:64
	s_waitcnt lgkmcnt(3)
	global_store_dwordx4 v[20:21], v[4:7], off offset:272
	;; [unrolled: 2-line block ×5, first 2 shown]
.LBB0_17:
	s_endpgm
	.section	.rodata,"a",@progbits
	.p2align	6, 0x0
	.amdhsa_kernel fft_rtc_fwd_len325_factors_13_5_5_wgs_52_tpt_13_dp_ip_CI_unitstride_sbrr_dirReg
		.amdhsa_group_segment_fixed_size 0
		.amdhsa_private_segment_fixed_size 0
		.amdhsa_kernarg_size 88
		.amdhsa_user_sgpr_count 6
		.amdhsa_user_sgpr_private_segment_buffer 1
		.amdhsa_user_sgpr_dispatch_ptr 0
		.amdhsa_user_sgpr_queue_ptr 0
		.amdhsa_user_sgpr_kernarg_segment_ptr 1
		.amdhsa_user_sgpr_dispatch_id 0
		.amdhsa_user_sgpr_flat_scratch_init 0
		.amdhsa_user_sgpr_private_segment_size 0
		.amdhsa_uses_dynamic_stack 0
		.amdhsa_system_sgpr_private_segment_wavefront_offset 0
		.amdhsa_system_sgpr_workgroup_id_x 1
		.amdhsa_system_sgpr_workgroup_id_y 0
		.amdhsa_system_sgpr_workgroup_id_z 0
		.amdhsa_system_sgpr_workgroup_info 0
		.amdhsa_system_vgpr_workitem_id 0
		.amdhsa_next_free_vgpr 203
		.amdhsa_next_free_sgpr 46
		.amdhsa_reserve_vcc 1
		.amdhsa_reserve_flat_scratch 0
		.amdhsa_float_round_mode_32 0
		.amdhsa_float_round_mode_16_64 0
		.amdhsa_float_denorm_mode_32 3
		.amdhsa_float_denorm_mode_16_64 3
		.amdhsa_dx10_clamp 1
		.amdhsa_ieee_mode 1
		.amdhsa_fp16_overflow 0
		.amdhsa_exception_fp_ieee_invalid_op 0
		.amdhsa_exception_fp_denorm_src 0
		.amdhsa_exception_fp_ieee_div_zero 0
		.amdhsa_exception_fp_ieee_overflow 0
		.amdhsa_exception_fp_ieee_underflow 0
		.amdhsa_exception_fp_ieee_inexact 0
		.amdhsa_exception_int_div_zero 0
	.end_amdhsa_kernel
	.text
.Lfunc_end0:
	.size	fft_rtc_fwd_len325_factors_13_5_5_wgs_52_tpt_13_dp_ip_CI_unitstride_sbrr_dirReg, .Lfunc_end0-fft_rtc_fwd_len325_factors_13_5_5_wgs_52_tpt_13_dp_ip_CI_unitstride_sbrr_dirReg
                                        ; -- End function
	.section	.AMDGPU.csdata,"",@progbits
; Kernel info:
; codeLenInByte = 16932
; NumSgprs: 50
; NumVgprs: 203
; ScratchSize: 0
; MemoryBound: 0
; FloatMode: 240
; IeeeMode: 1
; LDSByteSize: 0 bytes/workgroup (compile time only)
; SGPRBlocks: 6
; VGPRBlocks: 50
; NumSGPRsForWavesPerEU: 50
; NumVGPRsForWavesPerEU: 203
; Occupancy: 1
; WaveLimiterHint : 1
; COMPUTE_PGM_RSRC2:SCRATCH_EN: 0
; COMPUTE_PGM_RSRC2:USER_SGPR: 6
; COMPUTE_PGM_RSRC2:TRAP_HANDLER: 0
; COMPUTE_PGM_RSRC2:TGID_X_EN: 1
; COMPUTE_PGM_RSRC2:TGID_Y_EN: 0
; COMPUTE_PGM_RSRC2:TGID_Z_EN: 0
; COMPUTE_PGM_RSRC2:TIDIG_COMP_CNT: 0
	.type	__hip_cuid_dd447af95d54451,@object ; @__hip_cuid_dd447af95d54451
	.section	.bss,"aw",@nobits
	.globl	__hip_cuid_dd447af95d54451
__hip_cuid_dd447af95d54451:
	.byte	0                               ; 0x0
	.size	__hip_cuid_dd447af95d54451, 1

	.ident	"AMD clang version 19.0.0git (https://github.com/RadeonOpenCompute/llvm-project roc-6.4.0 25133 c7fe45cf4b819c5991fe208aaa96edf142730f1d)"
	.section	".note.GNU-stack","",@progbits
	.addrsig
	.addrsig_sym __hip_cuid_dd447af95d54451
	.amdgpu_metadata
---
amdhsa.kernels:
  - .args:
      - .actual_access:  read_only
        .address_space:  global
        .offset:         0
        .size:           8
        .value_kind:     global_buffer
      - .offset:         8
        .size:           8
        .value_kind:     by_value
      - .actual_access:  read_only
        .address_space:  global
        .offset:         16
        .size:           8
        .value_kind:     global_buffer
      - .actual_access:  read_only
        .address_space:  global
        .offset:         24
        .size:           8
        .value_kind:     global_buffer
      - .offset:         32
        .size:           8
        .value_kind:     by_value
      - .actual_access:  read_only
        .address_space:  global
        .offset:         40
        .size:           8
        .value_kind:     global_buffer
      - .actual_access:  read_only
        .address_space:  global
        .offset:         48
        .size:           8
        .value_kind:     global_buffer
      - .offset:         56
        .size:           4
        .value_kind:     by_value
      - .actual_access:  read_only
        .address_space:  global
        .offset:         64
        .size:           8
        .value_kind:     global_buffer
      - .actual_access:  read_only
        .address_space:  global
        .offset:         72
        .size:           8
        .value_kind:     global_buffer
      - .address_space:  global
        .offset:         80
        .size:           8
        .value_kind:     global_buffer
    .group_segment_fixed_size: 0
    .kernarg_segment_align: 8
    .kernarg_segment_size: 88
    .language:       OpenCL C
    .language_version:
      - 2
      - 0
    .max_flat_workgroup_size: 52
    .name:           fft_rtc_fwd_len325_factors_13_5_5_wgs_52_tpt_13_dp_ip_CI_unitstride_sbrr_dirReg
    .private_segment_fixed_size: 0
    .sgpr_count:     50
    .sgpr_spill_count: 0
    .symbol:         fft_rtc_fwd_len325_factors_13_5_5_wgs_52_tpt_13_dp_ip_CI_unitstride_sbrr_dirReg.kd
    .uniform_work_group_size: 1
    .uses_dynamic_stack: false
    .vgpr_count:     203
    .vgpr_spill_count: 0
    .wavefront_size: 64
amdhsa.target:   amdgcn-amd-amdhsa--gfx906
amdhsa.version:
  - 1
  - 2
...

	.end_amdgpu_metadata
